;; amdgpu-corpus repo=pytorch/pytorch kind=compiled arch=gfx1201 opt=O3
	.amdgcn_target "amdgcn-amd-amdhsa--gfx1201"
	.amdhsa_code_object_version 6
	.section	.text._ZN2at6native12_GLOBAL__N_128conv_depthwise3d_cuda_kernelIddLi3ELi3ELi3ELi1ELi1ELi1EEEvN5torch10headeronly6detail27GenericPackedTensorAccessorINS5_14TensorAccessorIN3c108ArrayRefIlEEKT_Lm4ENS4_16DefaultPtrTraitsEiEENS_6detail16IndexBoundsCheckILm5EiEESC_Lm5ESD_iEENS6_INS7_ISA_SB_Lm4ESD_iEESH_SB_Lm5ESD_iEESI_PSC_iiiiiiiii,"axG",@progbits,_ZN2at6native12_GLOBAL__N_128conv_depthwise3d_cuda_kernelIddLi3ELi3ELi3ELi1ELi1ELi1EEEvN5torch10headeronly6detail27GenericPackedTensorAccessorINS5_14TensorAccessorIN3c108ArrayRefIlEEKT_Lm4ENS4_16DefaultPtrTraitsEiEENS_6detail16IndexBoundsCheckILm5EiEESC_Lm5ESD_iEENS6_INS7_ISA_SB_Lm4ESD_iEESH_SB_Lm5ESD_iEESI_PSC_iiiiiiiii,comdat
	.globl	_ZN2at6native12_GLOBAL__N_128conv_depthwise3d_cuda_kernelIddLi3ELi3ELi3ELi1ELi1ELi1EEEvN5torch10headeronly6detail27GenericPackedTensorAccessorINS5_14TensorAccessorIN3c108ArrayRefIlEEKT_Lm4ENS4_16DefaultPtrTraitsEiEENS_6detail16IndexBoundsCheckILm5EiEESC_Lm5ESD_iEENS6_INS7_ISA_SB_Lm4ESD_iEESH_SB_Lm5ESD_iEESI_PSC_iiiiiiiii ; -- Begin function _ZN2at6native12_GLOBAL__N_128conv_depthwise3d_cuda_kernelIddLi3ELi3ELi3ELi1ELi1ELi1EEEvN5torch10headeronly6detail27GenericPackedTensorAccessorINS5_14TensorAccessorIN3c108ArrayRefIlEEKT_Lm4ENS4_16DefaultPtrTraitsEiEENS_6detail16IndexBoundsCheckILm5EiEESC_Lm5ESD_iEENS6_INS7_ISA_SB_Lm4ESD_iEESH_SB_Lm5ESD_iEESI_PSC_iiiiiiiii
	.p2align	8
	.type	_ZN2at6native12_GLOBAL__N_128conv_depthwise3d_cuda_kernelIddLi3ELi3ELi3ELi1ELi1ELi1EEEvN5torch10headeronly6detail27GenericPackedTensorAccessorINS5_14TensorAccessorIN3c108ArrayRefIlEEKT_Lm4ENS4_16DefaultPtrTraitsEiEENS_6detail16IndexBoundsCheckILm5EiEESC_Lm5ESD_iEENS6_INS7_ISA_SB_Lm4ESD_iEESH_SB_Lm5ESD_iEESI_PSC_iiiiiiiii,@function
_ZN2at6native12_GLOBAL__N_128conv_depthwise3d_cuda_kernelIddLi3ELi3ELi3ELi1ELi1ELi1EEEvN5torch10headeronly6detail27GenericPackedTensorAccessorINS5_14TensorAccessorIN3c108ArrayRefIlEEKT_Lm4ENS4_16DefaultPtrTraitsEiEENS_6detail16IndexBoundsCheckILm5EiEESC_Lm5ESD_iEENS6_INS7_ISA_SB_Lm4ESD_iEESH_SB_Lm5ESD_iEESI_PSC_iiiiiiiii: ; @_ZN2at6native12_GLOBAL__N_128conv_depthwise3d_cuda_kernelIddLi3ELi3ELi3ELi1ELi1ELi1EEEvN5torch10headeronly6detail27GenericPackedTensorAccessorINS5_14TensorAccessorIN3c108ArrayRefIlEEKT_Lm4ENS4_16DefaultPtrTraitsEiEENS_6detail16IndexBoundsCheckILm5EiEESC_Lm5ESD_iEENS6_INS7_ISA_SB_Lm4ESD_iEESH_SB_Lm5ESD_iEESI_PSC_iiiiiiiii
; %bb.0:
	s_clause 0x3
	s_load_b128 s[16:19], s[0:1], 0xc
	s_load_b32 s2, s[0:1], 0xcc
	s_load_b64 s[34:35], s[0:1], 0x48
	s_load_b128 s[20:23], s[0:1], 0x38
	s_mov_b32 s15, 0
	s_mov_b32 s14, ttmp9
	s_mov_b32 s3, s15
	v_mov_b32_e32 v9, 0
	s_wait_kmcnt 0x0
	s_abs_i32 s4, s16
	s_and_b32 s2, s2, 0xffff
	s_cvt_f32_u32 s5, s4
	s_mul_u64 s[40:41], s[2:3], s[14:15]
	s_mul_i32 s42, s35, s20
	v_add_co_u32 v1, s3, s40, v0
	v_rcp_iflag_f32_e32 v3, s5
	v_add_co_ci_u32_e64 v2, null, s41, 0, s3
	s_ashr_i32 s43, s42, 31
	s_mov_b32 s5, exec_lo
	s_delay_alu instid0(TRANS32_DEP_1)
	v_readfirstlane_b32 s3, v3
	v_cmpx_gt_i64_e64 s[42:43], v[1:2]
	s_cbranch_execz .LBB0_59
; %bb.1:
	s_mul_f32 s3, s3, 0x4f7ffffe
	s_sub_co_i32 s5, 0, s4
	s_abs_i32 s14, s21
	s_mov_b32 s7, s15
	s_wait_alu 0xfffe
	s_cvt_u32_f32 s3, s3
	s_clause 0x2
	s_load_b64 s[44:45], s[0:1], 0x90
	s_load_b128 s[24:27], s[0:1], 0x98
	s_load_b64 s[46:47], s[0:1], 0xa8
	s_ashr_i32 s20, s21, 31
	s_add_nc_u64 s[8:9], s[0:1], 0xc0
	s_mul_i32 s5, s5, s3
	s_load_b32 s8, s[8:9], 0x0
	s_mul_hi_u32 s5, s3, s5
	s_clause 0x1
	s_load_b64 s[48:49], s[0:1], 0x0
	s_load_b128 s[28:31], s[0:1], 0x1c
	s_add_co_i32 s6, s3, s5
	s_ashr_i32 s3, s16, 31
	s_mul_u64 s[6:7], s[14:15], s[6:7]
	s_wait_alu 0xfffe
	s_xor_b32 s3, s20, s3
	s_mul_i32 s5, s7, s4
	s_add_co_i32 s6, s7, 1
	s_wait_alu 0xfffe
	s_sub_co_i32 s5, s14, s5
	s_load_b32 s16, s[0:1], 0x7c
	s_sub_co_i32 s10, s5, s4
	s_cmp_ge_u32 s5, s4
	s_clause 0x1
	s_load_b32 s60, s[0:1], 0x2c
	s_load_b64 s[50:51], s[0:1], 0x30
	s_cselect_b32 s6, s6, s7
	s_cselect_b32 s5, s10, s5
	s_add_co_i32 s7, s6, 1
	s_wait_alu 0xfffe
	s_cmp_ge_u32 s5, s4
	s_clause 0x1
	s_load_b64 s[52:53], s[0:1], 0x60
	s_load_b128 s[36:39], s[0:1], 0x50
	s_cselect_b32 s4, s7, s6
	s_add_co_i32 s6, s18, -3
	s_wait_alu 0xfffe
	s_xor_b32 s4, s4, s3
	s_mul_i32 s6, s19, s6
	s_ashr_i32 s5, s19, 31
	s_wait_alu 0xfffe
	s_sub_co_i32 s3, s4, s3
	s_ashr_i32 s7, s6, 31
	s_wait_kmcnt 0x0
	s_cmp_lg_u64 s[44:45], 0
	s_cvt_f32_u32 s10, s14
	s_cselect_b32 s33, -1, 0
	s_abs_i32 s58, s34
	s_abs_i32 s59, s23
	s_cvt_f32_u32 s4, s58
	s_cvt_f32_u32 s9, s59
	s_abs_i32 s61, s22
	s_wait_alu 0xfffe
	s_abs_i32 s64, s3
	v_rcp_iflag_f32_e32 v1, s4
	v_rcp_iflag_f32_e32 v2, s9
	s_cvt_f32_u32 s0, s61
	v_rcp_iflag_f32_e32 v3, s10
	s_cvt_f32_u32 s10, s64
	s_mul_i32 s62, s8, s2
	s_sub_co_i32 s8, 0, s58
	s_sub_co_i32 s9, 0, s59
	s_mov_b32 s4, s19
	s_ashr_i32 s63, s34, 31
	v_readfirstlane_b32 s1, v1
	v_rcp_iflag_f32_e32 v1, s0
	v_readfirstlane_b32 s0, v2
	s_ashr_i32 s66, s23, 31
	s_ashr_i32 s68, s22, 31
	s_mul_f32 s1, s1, 0x4f7ffffe
	s_ashr_i32 s71, s3, 31
	s_mul_f32 s0, s0, 0x4f7ffffe
	s_wait_alu 0xfffe
	s_mul_i32 s73, ttmp9, s2
	s_cvt_u32_f32 s1, s1
	s_lshl_b64 s[54:55], s[4:5], 3
	v_readfirstlane_b32 s11, v1
	v_rcp_iflag_f32_e32 v1, s10
	s_cvt_u32_f32 s0, s0
	s_wait_alu 0xfffe
	s_mul_i32 s8, s8, s1
	s_lshl_b64 s[56:57], s[6:7], 3
	s_wait_alu 0xfffe
	s_mul_hi_u32 s8, s1, s8
	s_mul_i32 s9, s9, s0
	s_mul_f32 s10, s11, 0x4f7ffffe
	s_wait_alu 0xfffe
	s_add_co_i32 s65, s1, s8
	s_mul_hi_u32 s1, s0, s9
	v_readfirstlane_b32 s9, v3
	s_wait_alu 0xfffe
	s_add_co_i32 s67, s0, s1
	v_readfirstlane_b32 s1, v1
	s_cvt_u32_f32 s8, s10
	s_sub_co_i32 s0, 0, s61
	s_mul_f32 s9, s9, 0x4f7ffffe
	s_wait_alu 0xfffe
	s_mul_i32 s0, s0, s8
	s_mul_f32 s1, s1, 0x4f7ffffe
	s_wait_alu 0xfffe
	s_mul_hi_u32 s0, s8, s0
	s_cvt_u32_f32 s9, s9
	s_wait_alu 0xfffe
	s_add_co_i32 s69, s8, s0
	s_sub_co_i32 s0, 0, s14
	s_cvt_u32_f32 s1, s1
	s_wait_alu 0xfffe
	s_mul_i32 s0, s0, s9
	s_sub_co_i32 s8, 0, s64
	s_wait_alu 0xfffe
	s_mul_hi_u32 s0, s9, s0
	s_mul_i32 s8, s8, s1
	s_wait_alu 0xfffe
	s_add_co_i32 s70, s9, s0
	s_mul_hi_u32 s0, s1, s8
	s_wait_alu 0xfffe
	s_add_co_i32 s72, s1, s0
	s_branch .LBB0_3
.LBB0_2:                                ;   in Loop: Header=BB0_3 Depth=1
	v_mul_lo_u32 v5, v11, s35
	v_mul_lo_u32 v1, s36, v1
	;; [unrolled: 1-line block ×4, first 2 shown]
	v_add_co_u32 v0, vcc_lo, v0, s62
	v_mul_lo_u32 v13, s39, v10
	s_wait_alu 0xfffd
	v_add_co_ci_u32_e64 v9, null, 0, v9, vcc_lo
	v_ashrrev_i32_e32 v6, 31, v5
	v_ashrrev_i32_e32 v2, 31, v1
	;; [unrolled: 1-line block ×4, first 2 shown]
	s_delay_alu instid0(VALU_DEP_4) | instskip(NEXT) | instid1(VALU_DEP_4)
	v_lshlrev_b64_e32 v[5:6], 3, v[5:6]
	v_lshlrev_b64_e32 v[1:2], 3, v[1:2]
	v_ashrrev_i32_e32 v14, 31, v13
	s_delay_alu instid0(VALU_DEP_3) | instskip(SKIP_1) | instid1(VALU_DEP_4)
	v_add_co_u32 v10, vcc_lo, s50, v5
	s_wait_alu 0xfffd
	v_add_co_ci_u32_e64 v15, null, s51, v6, vcc_lo
	v_lshlrev_b64_e32 v[5:6], 3, v[7:8]
	s_delay_alu instid0(VALU_DEP_3) | instskip(SKIP_1) | instid1(VALU_DEP_3)
	v_add_co_u32 v7, vcc_lo, v10, v1
	s_wait_alu 0xfffd
	v_add_co_ci_u32_e64 v8, null, v15, v2, vcc_lo
	v_lshlrev_b64_e32 v[1:2], 3, v[11:12]
	s_delay_alu instid0(VALU_DEP_3) | instskip(SKIP_1) | instid1(VALU_DEP_3)
	v_add_co_u32 v10, vcc_lo, v7, v5
	s_wait_alu 0xfffd
	v_add_co_ci_u32_e64 v11, null, v8, v6, vcc_lo
	v_add_co_u32 v7, vcc_lo, s40, v0
	v_lshlrev_b64_e32 v[5:6], 3, v[13:14]
	s_wait_alu 0xfffd
	v_add_co_ci_u32_e64 v8, null, s41, v9, vcc_lo
	v_add_co_u32 v1, vcc_lo, v10, v1
	s_wait_alu 0xfffd
	v_add_co_ci_u32_e64 v2, null, v11, v2, vcc_lo
	s_delay_alu instid0(VALU_DEP_3) | instskip(NEXT) | instid1(VALU_DEP_3)
	v_cmp_le_i64_e32 vcc_lo, s[42:43], v[7:8]
	v_add_co_u32 v1, s0, v1, v5
	s_wait_alu 0xf1ff
	s_delay_alu instid0(VALU_DEP_3)
	v_add_co_ci_u32_e64 v2, null, v2, v6, s0
	s_or_b32 s15, vcc_lo, s15
	global_store_b64 v[1:2], v[3:4], off
	s_wait_alu 0xfffe
	s_and_not1_b32 exec_lo, exec_lo, s15
	s_cbranch_execz .LBB0_59
.LBB0_3:                                ; =>This Inner Loop Header: Depth=1
	v_add_nc_u32_e32 v2, s73, v0
	s_delay_alu instid0(VALU_DEP_1) | instskip(NEXT) | instid1(VALU_DEP_1)
	v_sub_nc_u32_e32 v1, 0, v2
	v_max_i32_e32 v1, v2, v1
	s_delay_alu instid0(VALU_DEP_1) | instskip(NEXT) | instid1(VALU_DEP_1)
	v_mul_hi_u32 v3, v1, s65
	v_mul_lo_u32 v4, v3, s58
	s_delay_alu instid0(VALU_DEP_1) | instskip(SKIP_1) | instid1(VALU_DEP_2)
	v_sub_nc_u32_e32 v1, v1, v4
	v_add_nc_u32_e32 v4, 1, v3
	v_subrev_nc_u32_e32 v5, s58, v1
	v_cmp_le_u32_e32 vcc_lo, s58, v1
	s_wait_alu 0xfffd
	s_delay_alu instid0(VALU_DEP_3) | instskip(NEXT) | instid1(VALU_DEP_3)
	v_cndmask_b32_e32 v3, v3, v4, vcc_lo
	v_cndmask_b32_e32 v1, v1, v5, vcc_lo
	v_ashrrev_i32_e32 v4, 31, v2
	s_delay_alu instid0(VALU_DEP_3) | instskip(NEXT) | instid1(VALU_DEP_3)
	v_add_nc_u32_e32 v5, 1, v3
	v_cmp_le_u32_e32 vcc_lo, s58, v1
	s_delay_alu instid0(VALU_DEP_3) | instskip(SKIP_1) | instid1(VALU_DEP_3)
	v_xor_b32_e32 v4, s63, v4
	s_wait_alu 0xfffd
	v_cndmask_b32_e32 v1, v3, v5, vcc_lo
	s_delay_alu instid0(VALU_DEP_1) | instskip(NEXT) | instid1(VALU_DEP_1)
	v_xor_b32_e32 v1, v1, v4
	v_sub_nc_u32_e32 v3, v1, v4
	s_delay_alu instid0(VALU_DEP_1) | instskip(NEXT) | instid1(VALU_DEP_1)
	v_sub_nc_u32_e32 v1, 0, v3
	v_max_i32_e32 v1, v3, v1
	s_delay_alu instid0(VALU_DEP_1) | instskip(NEXT) | instid1(VALU_DEP_1)
	v_mul_hi_u32 v4, v1, s67
	v_mul_lo_u32 v5, v4, s59
	s_delay_alu instid0(VALU_DEP_1) | instskip(SKIP_1) | instid1(VALU_DEP_2)
	v_sub_nc_u32_e32 v1, v1, v5
	v_add_nc_u32_e32 v5, 1, v4
	v_subrev_nc_u32_e32 v6, s59, v1
	v_cmp_le_u32_e32 vcc_lo, s59, v1
	s_wait_alu 0xfffd
	s_delay_alu instid0(VALU_DEP_2) | instskip(SKIP_1) | instid1(VALU_DEP_2)
	v_dual_cndmask_b32 v4, v4, v5 :: v_dual_cndmask_b32 v1, v1, v6
	v_ashrrev_i32_e32 v5, 31, v3
	v_add_nc_u32_e32 v6, 1, v4
	s_delay_alu instid0(VALU_DEP_3) | instskip(NEXT) | instid1(VALU_DEP_3)
	v_cmp_le_u32_e32 vcc_lo, s59, v1
	v_xor_b32_e32 v5, s66, v5
	s_wait_alu 0xfffd
	s_delay_alu instid0(VALU_DEP_3) | instskip(NEXT) | instid1(VALU_DEP_1)
	v_cndmask_b32_e32 v1, v4, v6, vcc_lo
	v_xor_b32_e32 v1, v1, v5
	s_delay_alu instid0(VALU_DEP_1) | instskip(NEXT) | instid1(VALU_DEP_1)
	v_sub_nc_u32_e32 v4, v1, v5
	v_sub_nc_u32_e32 v1, 0, v4
	s_delay_alu instid0(VALU_DEP_1) | instskip(NEXT) | instid1(VALU_DEP_1)
	v_max_i32_e32 v1, v4, v1
	v_mul_hi_u32 v5, v1, s69
	s_delay_alu instid0(VALU_DEP_1) | instskip(NEXT) | instid1(VALU_DEP_1)
	v_mul_lo_u32 v6, v5, s61
	v_sub_nc_u32_e32 v1, v1, v6
	v_add_nc_u32_e32 v6, 1, v5
	s_delay_alu instid0(VALU_DEP_2) | instskip(SKIP_2) | instid1(VALU_DEP_3)
	v_subrev_nc_u32_e32 v7, s61, v1
	v_cmp_le_u32_e32 vcc_lo, s61, v1
	s_wait_alu 0xfffd
	v_cndmask_b32_e32 v5, v5, v6, vcc_lo
	s_delay_alu instid0(VALU_DEP_3) | instskip(SKIP_1) | instid1(VALU_DEP_3)
	v_cndmask_b32_e32 v1, v1, v7, vcc_lo
	v_ashrrev_i32_e32 v6, 31, v4
	v_add_nc_u32_e32 v7, 1, v5
	s_delay_alu instid0(VALU_DEP_3) | instskip(NEXT) | instid1(VALU_DEP_3)
	v_cmp_le_u32_e32 vcc_lo, s61, v1
	v_xor_b32_e32 v6, s68, v6
	s_wait_alu 0xfffd
	s_delay_alu instid0(VALU_DEP_3) | instskip(NEXT) | instid1(VALU_DEP_1)
	v_cndmask_b32_e32 v1, v5, v7, vcc_lo
	v_xor_b32_e32 v1, v1, v6
	s_delay_alu instid0(VALU_DEP_1) | instskip(NEXT) | instid1(VALU_DEP_1)
	v_sub_nc_u32_e32 v6, v1, v6
	v_sub_nc_u32_e32 v1, 0, v6
	s_delay_alu instid0(VALU_DEP_1) | instskip(NEXT) | instid1(VALU_DEP_1)
	v_max_i32_e32 v1, v6, v1
	v_mul_hi_u32 v5, v1, s70
	s_delay_alu instid0(VALU_DEP_1) | instskip(NEXT) | instid1(VALU_DEP_1)
	v_mul_lo_u32 v7, v5, s14
	v_sub_nc_u32_e32 v1, v1, v7
	v_add_nc_u32_e32 v7, 1, v5
	s_delay_alu instid0(VALU_DEP_2) | instskip(SKIP_2) | instid1(VALU_DEP_3)
	v_subrev_nc_u32_e32 v8, s14, v1
	v_cmp_le_u32_e32 vcc_lo, s14, v1
	s_wait_alu 0xfffd
	v_cndmask_b32_e32 v5, v5, v7, vcc_lo
	s_delay_alu instid0(VALU_DEP_3) | instskip(SKIP_1) | instid1(VALU_DEP_3)
	v_cndmask_b32_e32 v1, v1, v8, vcc_lo
	v_ashrrev_i32_e32 v7, 31, v6
	v_add_nc_u32_e32 v8, 1, v5
	s_delay_alu instid0(VALU_DEP_3) | instskip(NEXT) | instid1(VALU_DEP_3)
	v_cmp_le_u32_e32 vcc_lo, s14, v1
	v_xor_b32_e32 v7, s20, v7
	s_wait_alu 0xfffd
	s_delay_alu instid0(VALU_DEP_3) | instskip(SKIP_2) | instid1(VALU_DEP_3)
	v_cndmask_b32_e32 v1, v5, v8, vcc_lo
	v_mul_lo_u32 v5, v3, s34
	v_mul_lo_u32 v8, v4, s23
	v_xor_b32_e32 v1, v1, v7
	s_delay_alu instid0(VALU_DEP_3) | instskip(NEXT) | instid1(VALU_DEP_2)
	v_sub_nc_u32_e32 v10, v2, v5
	v_sub_nc_u32_e32 v11, v1, v7
	s_delay_alu instid0(VALU_DEP_4) | instskip(NEXT) | instid1(VALU_DEP_3)
	v_sub_nc_u32_e32 v12, v3, v8
	v_mul_lo_u32 v5, v10, s26
	s_delay_alu instid0(VALU_DEP_3) | instskip(NEXT) | instid1(VALU_DEP_3)
	v_mul_lo_u32 v1, v11, s21
	v_mul_lo_u32 v8, v12, s25
	s_delay_alu instid0(VALU_DEP_3) | instskip(NEXT) | instid1(VALU_DEP_3)
	v_subrev_nc_u32_e32 v16, s47, v5
	v_sub_nc_u32_e32 v1, v6, v1
	s_delay_alu instid0(VALU_DEP_3) | instskip(NEXT) | instid1(VALU_DEP_3)
	v_subrev_nc_u32_e32 v15, s46, v8
	v_mul_lo_u32 v5, s60, v16
	s_delay_alu instid0(VALU_DEP_3) | instskip(NEXT) | instid1(VALU_DEP_3)
	v_sub_nc_u32_e32 v7, 0, v1
	v_cmp_gt_i32_e64 s5, s18, v15
	v_cmp_lt_i32_e64 s6, -1, v15
	s_delay_alu instid0(VALU_DEP_3) | instskip(NEXT) | instid1(VALU_DEP_1)
	v_max_i32_e32 v7, v1, v7
	v_mul_hi_u32 v2, v7, s72
	s_delay_alu instid0(VALU_DEP_1) | instskip(NEXT) | instid1(VALU_DEP_1)
	v_mul_lo_u32 v13, v2, s64
	v_sub_nc_u32_e32 v3, v7, v13
	v_mul_lo_u32 v7, v6, s22
	v_add_nc_u32_e32 v6, 1, v2
	s_delay_alu instid0(VALU_DEP_3) | instskip(SKIP_1) | instid1(VALU_DEP_4)
	v_subrev_nc_u32_e32 v14, s64, v3
	v_cmp_le_u32_e32 vcc_lo, s64, v3
	v_sub_nc_u32_e32 v13, v4, v7
	v_mul_lo_u32 v7, s31, v15
	s_wait_alu 0xfffd
	v_cndmask_b32_e32 v17, v2, v6, vcc_lo
	v_cndmask_b32_e32 v3, v3, v14, vcc_lo
	v_ashrrev_i32_e32 v2, 31, v1
	v_ashrrev_i32_e32 v6, 31, v5
	v_mul_lo_u32 v8, v13, s24
	v_add_nc_u32_e32 v4, 1, v17
	v_cmp_le_u32_e32 vcc_lo, s64, v3
	v_xor_b32_e32 v19, s71, v2
	s_wait_alu 0xfffd
	s_delay_alu instid0(VALU_DEP_3)
	v_cndmask_b32_e32 v14, v17, v4, vcc_lo
	v_lshlrev_b64_e32 v[17:18], 3, v[5:6]
	v_mul_lo_u32 v5, s28, v11
	v_cmp_gt_i32_e32 vcc_lo, s19, v16
	v_mov_b32_e32 v3, 0
	v_xor_b32_e32 v20, v14, v19
	v_subrev_nc_u32_e32 v14, s27, v8
	v_ashrrev_i32_e32 v8, 31, v7
	v_mov_b32_e32 v4, 0
	s_delay_alu instid0(VALU_DEP_4) | instskip(NEXT) | instid1(VALU_DEP_4)
	v_sub_nc_u32_e32 v6, v20, v19
	v_or_b32_e32 v22, v14, v15
	v_mul_lo_u32 v19, s30, v14
	v_cmp_gt_i32_e64 s11, s17, v14
	v_lshlrev_b64_e32 v[7:8], 3, v[7:8]
	v_mul_lo_u32 v21, s29, v6
	v_ashrrev_i32_e32 v6, 31, v5
	v_or_b32_e32 v23, v22, v16
	v_cmp_lt_i32_e64 s4, -1, v22
	v_cmp_lt_i32_e64 s8, -1, v14
	v_ashrrev_i32_e32 v20, 31, v19
	v_lshlrev_b64_e32 v[5:6], 3, v[5:6]
	v_cmp_lt_i32_e64 s0, -1, v23
	v_ashrrev_i32_e32 v22, 31, v21
	v_mul_lo_u32 v23, s16, v1
	v_lshlrev_b64_e32 v[19:20], 3, v[19:20]
	v_add_co_u32 v5, s1, s48, v5
	s_delay_alu instid0(VALU_DEP_4)
	v_lshlrev_b64_e32 v[21:22], 3, v[21:22]
	s_wait_alu 0xf1ff
	v_add_co_ci_u32_e64 v6, null, s49, v6, s1
	s_and_b32 s2, s0, s11
	v_ashrrev_i32_e32 v24, 31, v23
	v_cmp_lt_i32_e64 s1, -1, v16
	v_add_co_u32 v5, s0, v5, v21
	s_wait_alu 0xf1ff
	v_add_co_ci_u32_e64 v6, null, v6, v22, s0
	s_delay_alu instid0(VALU_DEP_2) | instskip(SKIP_1) | instid1(VALU_DEP_2)
	v_add_co_u32 v19, s0, v5, v19
	s_wait_alu 0xf1ff
	v_add_co_ci_u32_e64 v20, null, v6, v20, s0
	v_lshlrev_b64_e32 v[5:6], 3, v[23:24]
	s_delay_alu instid0(VALU_DEP_3) | instskip(SKIP_1) | instid1(VALU_DEP_3)
	v_add_co_u32 v7, s0, v19, v7
	s_wait_alu 0xf1ff
	v_add_co_ci_u32_e64 v8, null, v20, v8, s0
	s_delay_alu instid0(VALU_DEP_3)
	v_add_co_u32 v5, s0, s52, v5
	s_wait_alu 0xf1ff
	v_add_co_ci_u32_e64 v6, null, s53, v6, s0
	v_add_co_u32 v7, s0, v7, v17
	s_wait_alu 0xf1ff
	v_add_co_ci_u32_e64 v8, null, v8, v18, s0
	s_wait_alu 0xfffe
	s_and_b32 s0, s2, s5
	s_wait_alu 0xfffe
	s_and_b32 s2, s0, vcc_lo
	s_wait_alu 0xfffe
	s_and_saveexec_b32 s0, s2
	s_cbranch_execz .LBB0_5
; %bb.4:                                ;   in Loop: Header=BB0_3 Depth=1
	global_load_b64 v[3:4], v[5:6], off
	global_load_b64 v[17:18], v[7:8], off
	s_wait_loadcnt 0x0
	v_fma_f64 v[3:4], v[3:4], v[17:18], 0
.LBB0_5:                                ;   in Loop: Header=BB0_3 Depth=1
	s_wait_alu 0xfffe
	s_or_b32 exec_lo, exec_lo, s0
	v_cmp_lt_i32_e64 s0, -2, v16
	v_add_nc_u32_e32 v17, 1, v16
	s_and_b32 s3, s4, s0
	s_delay_alu instid0(VALU_DEP_1)
	v_cmp_gt_i32_e64 s2, s19, v17
	s_wait_alu 0xfffe
	s_and_b32 s3, s3, s11
	s_wait_alu 0xfffe
	s_and_b32 s3, s3, s5
	;; [unrolled: 2-line block ×3, first 2 shown]
	s_delay_alu instid0(SALU_CYCLE_1)
	s_and_saveexec_b32 s3, s7
	s_cbranch_execz .LBB0_7
; %bb.6:                                ;   in Loop: Header=BB0_3 Depth=1
	global_load_b64 v[17:18], v[5:6], off offset:8
	global_load_b64 v[19:20], v[7:8], off offset:8
	s_wait_loadcnt 0x0
	v_fma_f64 v[3:4], v[17:18], v[19:20], v[3:4]
.LBB0_7:                                ;   in Loop: Header=BB0_3 Depth=1
	s_wait_alu 0xfffe
	s_or_b32 exec_lo, exec_lo, s3
	v_cmp_lt_i32_e64 s3, -3, v16
	v_add_nc_u32_e32 v16, 2, v16
	s_and_b32 s7, s4, s3
	s_delay_alu instid0(VALU_DEP_1) | instskip(SKIP_1) | instid1(SALU_CYCLE_1)
	v_cmp_gt_i32_e64 s4, s19, v16
	s_and_b32 s7, s7, s11
	s_and_b32 s7, s7, s5
	s_delay_alu instid0(SALU_CYCLE_1)
	s_and_b32 s9, s7, s4
	s_wait_alu 0xfffe
	s_and_saveexec_b32 s7, s9
	s_cbranch_execz .LBB0_9
; %bb.8:                                ;   in Loop: Header=BB0_3 Depth=1
	global_load_b64 v[16:17], v[5:6], off offset:16
	global_load_b64 v[18:19], v[7:8], off offset:16
	s_wait_loadcnt 0x0
	v_fma_f64 v[3:4], v[16:17], v[18:19], v[3:4]
.LBB0_9:                                ;   in Loop: Header=BB0_3 Depth=1
	s_or_b32 exec_lo, exec_lo, s7
	v_cmp_lt_i32_e64 s9, -2, v15
	v_add_nc_u32_e32 v16, 1, v15
	s_and_b32 s12, s8, s9
	s_delay_alu instid0(VALU_DEP_1)
	v_cmp_gt_i32_e64 s7, s18, v16
	s_wait_alu 0xfffe
	s_and_b32 s10, s12, s1
	s_wait_alu 0xfffe
	s_and_b32 s13, s10, s11
	v_add_co_u32 v7, s10, v7, s54
	s_wait_alu 0xf1ff
	v_add_co_ci_u32_e64 v8, null, s55, v8, s10
	s_wait_alu 0xfffe
	s_and_b32 s10, s13, s7
	s_wait_alu 0xfffe
	s_and_b32 s13, s10, vcc_lo
	s_wait_alu 0xfffe
	s_and_saveexec_b32 s10, s13
	s_cbranch_execz .LBB0_11
; %bb.10:                               ;   in Loop: Header=BB0_3 Depth=1
	global_load_b64 v[16:17], v[5:6], off offset:24
	global_load_b64 v[18:19], v[7:8], off
	s_wait_loadcnt 0x0
	v_fma_f64 v[3:4], v[16:17], v[18:19], v[3:4]
.LBB0_11:                               ;   in Loop: Header=BB0_3 Depth=1
	s_wait_alu 0xfffe
	s_or_b32 exec_lo, exec_lo, s10
	s_and_b32 s10, s12, s0
	s_wait_alu 0xfffe
	s_and_b32 s10, s10, s11
	s_wait_alu 0xfffe
	;; [unrolled: 2-line block ×4, first 2 shown]
	s_and_saveexec_b32 s10, s13
	s_cbranch_execz .LBB0_13
; %bb.12:                               ;   in Loop: Header=BB0_3 Depth=1
	global_load_b64 v[16:17], v[5:6], off offset:32
	global_load_b64 v[18:19], v[7:8], off offset:8
	s_wait_loadcnt 0x0
	v_fma_f64 v[3:4], v[16:17], v[18:19], v[3:4]
.LBB0_13:                               ;   in Loop: Header=BB0_3 Depth=1
	s_wait_alu 0xfffe
	s_or_b32 exec_lo, exec_lo, s10
	s_and_b32 s10, s12, s3
	s_wait_alu 0xfffe
	s_and_b32 s10, s10, s11
	s_wait_alu 0xfffe
	;; [unrolled: 2-line block ×4, first 2 shown]
	s_and_saveexec_b32 s10, s12
	s_cbranch_execz .LBB0_15
; %bb.14:                               ;   in Loop: Header=BB0_3 Depth=1
	global_load_b64 v[16:17], v[5:6], off offset:40
	global_load_b64 v[18:19], v[7:8], off offset:16
	s_wait_loadcnt 0x0
	v_fma_f64 v[3:4], v[16:17], v[18:19], v[3:4]
.LBB0_15:                               ;   in Loop: Header=BB0_3 Depth=1
	s_wait_alu 0xfffe
	s_or_b32 exec_lo, exec_lo, s10
	v_cmp_lt_i32_e64 s10, -3, v15
	v_add_nc_u32_e32 v15, 2, v15
	s_and_b32 s13, s8, s10
	s_delay_alu instid0(VALU_DEP_1)
	v_cmp_gt_i32_e64 s8, s18, v15
	s_wait_alu 0xfffe
	s_and_b32 s12, s13, s1
	s_wait_alu 0xfffe
	s_and_b32 s74, s12, s11
	v_add_co_u32 v7, s12, v7, s54
	s_wait_alu 0xf1ff
	v_add_co_ci_u32_e64 v8, null, s55, v8, s12
	s_and_b32 s12, s74, s8
	s_wait_alu 0xfffe
	s_and_b32 s74, s12, vcc_lo
	s_delay_alu instid0(SALU_CYCLE_1)
	s_and_saveexec_b32 s12, s74
	s_cbranch_execz .LBB0_17
; %bb.16:                               ;   in Loop: Header=BB0_3 Depth=1
	global_load_b64 v[15:16], v[5:6], off offset:48
	global_load_b64 v[17:18], v[7:8], off
	s_wait_loadcnt 0x0
	v_fma_f64 v[3:4], v[15:16], v[17:18], v[3:4]
.LBB0_17:                               ;   in Loop: Header=BB0_3 Depth=1
	s_wait_alu 0xfffe
	s_or_b32 exec_lo, exec_lo, s12
	s_and_b32 s12, s13, s0
	s_wait_alu 0xfffe
	s_and_b32 s12, s12, s11
	s_wait_alu 0xfffe
	;; [unrolled: 2-line block ×3, first 2 shown]
	s_and_b32 s74, s12, s2
	s_delay_alu instid0(SALU_CYCLE_1)
	s_and_saveexec_b32 s12, s74
	s_cbranch_execz .LBB0_19
; %bb.18:                               ;   in Loop: Header=BB0_3 Depth=1
	global_load_b64 v[15:16], v[5:6], off offset:56
	global_load_b64 v[17:18], v[7:8], off offset:8
	s_wait_loadcnt 0x0
	v_fma_f64 v[3:4], v[15:16], v[17:18], v[3:4]
.LBB0_19:                               ;   in Loop: Header=BB0_3 Depth=1
	s_wait_alu 0xfffe
	s_or_b32 exec_lo, exec_lo, s12
	s_and_b32 s12, s13, s3
	s_wait_alu 0xfffe
	s_and_b32 s11, s12, s11
	s_wait_alu 0xfffe
	;; [unrolled: 2-line block ×4, first 2 shown]
	s_and_saveexec_b32 s11, s12
	s_cbranch_execz .LBB0_21
; %bb.20:                               ;   in Loop: Header=BB0_3 Depth=1
	global_load_b64 v[15:16], v[5:6], off offset:64
	global_load_b64 v[17:18], v[7:8], off offset:16
	s_wait_loadcnt 0x0
	v_fma_f64 v[3:4], v[15:16], v[17:18], v[3:4]
.LBB0_21:                               ;   in Loop: Header=BB0_3 Depth=1
	s_wait_alu 0xfffe
	s_or_b32 exec_lo, exec_lo, s11
	v_add_nc_u32_e32 v15, 1, v14
	v_cmp_lt_i32_e64 s12, -2, v14
	v_add_co_u32 v7, s13, v7, s54
	s_wait_alu 0xf1ff
	v_add_co_ci_u32_e64 v8, null, s55, v8, s13
	v_cmp_gt_i32_e64 s11, s17, v15
	s_and_b32 s74, s12, s6
	v_add_co_u32 v7, s13, v7, s56
	s_and_b32 s75, s74, s1
	v_add_co_ci_u32_e64 v8, null, s57, v8, s13
	s_and_b32 s75, s75, s11
	s_delay_alu instid0(SALU_CYCLE_1) | instskip(SKIP_2) | instid1(SALU_CYCLE_1)
	s_and_b32 s13, s75, s5
	s_wait_alu 0xfffe
	s_and_b32 s75, s13, vcc_lo
	s_and_saveexec_b32 s13, s75
	s_cbranch_execz .LBB0_23
; %bb.22:                               ;   in Loop: Header=BB0_3 Depth=1
	global_load_b64 v[15:16], v[5:6], off offset:72
	global_load_b64 v[17:18], v[7:8], off
	s_wait_loadcnt 0x0
	v_fma_f64 v[3:4], v[15:16], v[17:18], v[3:4]
.LBB0_23:                               ;   in Loop: Header=BB0_3 Depth=1
	s_wait_alu 0xfffe
	s_or_b32 exec_lo, exec_lo, s13
	s_and_b32 s13, s74, s0
	s_wait_alu 0xfffe
	s_and_b32 s13, s13, s11
	s_wait_alu 0xfffe
	;; [unrolled: 2-line block ×3, first 2 shown]
	s_and_b32 s75, s13, s2
	s_delay_alu instid0(SALU_CYCLE_1)
	s_and_saveexec_b32 s13, s75
	s_cbranch_execz .LBB0_25
; %bb.24:                               ;   in Loop: Header=BB0_3 Depth=1
	global_load_b64 v[15:16], v[5:6], off offset:80
	global_load_b64 v[17:18], v[7:8], off offset:8
	s_wait_loadcnt 0x0
	v_fma_f64 v[3:4], v[15:16], v[17:18], v[3:4]
.LBB0_25:                               ;   in Loop: Header=BB0_3 Depth=1
	s_wait_alu 0xfffe
	s_or_b32 exec_lo, exec_lo, s13
	s_and_b32 s13, s74, s3
	s_wait_alu 0xfffe
	s_and_b32 s13, s13, s11
	s_wait_alu 0xfffe
	s_and_b32 s13, s13, s5
	s_wait_alu 0xfffe
	s_and_b32 s74, s13, s4
	s_delay_alu instid0(SALU_CYCLE_1)
	s_and_saveexec_b32 s13, s74
	s_cbranch_execz .LBB0_27
; %bb.26:                               ;   in Loop: Header=BB0_3 Depth=1
	global_load_b64 v[15:16], v[5:6], off offset:88
	global_load_b64 v[17:18], v[7:8], off offset:16
	s_wait_loadcnt 0x0
	v_fma_f64 v[3:4], v[15:16], v[17:18], v[3:4]
.LBB0_27:                               ;   in Loop: Header=BB0_3 Depth=1
	s_wait_alu 0xfffe
	s_or_b32 exec_lo, exec_lo, s13
	s_and_b32 s74, s12, s9
	s_delay_alu instid0(SALU_CYCLE_1)
	s_and_b32 s13, s74, s1
	s_wait_alu 0xfffe
	s_and_b32 s75, s13, s11
	v_add_co_u32 v7, s13, v7, s54
	s_wait_alu 0xf1ff
	v_add_co_ci_u32_e64 v8, null, s55, v8, s13
	s_and_b32 s13, s75, s7
	s_wait_alu 0xfffe
	s_and_b32 s75, s13, vcc_lo
	s_delay_alu instid0(SALU_CYCLE_1)
	s_and_saveexec_b32 s13, s75
	s_cbranch_execz .LBB0_29
; %bb.28:                               ;   in Loop: Header=BB0_3 Depth=1
	global_load_b64 v[15:16], v[5:6], off offset:96
	global_load_b64 v[17:18], v[7:8], off
	s_wait_loadcnt 0x0
	v_fma_f64 v[3:4], v[15:16], v[17:18], v[3:4]
.LBB0_29:                               ;   in Loop: Header=BB0_3 Depth=1
	s_wait_alu 0xfffe
	s_or_b32 exec_lo, exec_lo, s13
	s_and_b32 s13, s74, s0
	s_wait_alu 0xfffe
	s_and_b32 s13, s13, s11
	s_wait_alu 0xfffe
	s_and_b32 s13, s13, s7
	s_wait_alu 0xfffe
	s_and_b32 s75, s13, s2
	s_delay_alu instid0(SALU_CYCLE_1)
	s_and_saveexec_b32 s13, s75
	s_cbranch_execz .LBB0_31
; %bb.30:                               ;   in Loop: Header=BB0_3 Depth=1
	global_load_b64 v[15:16], v[5:6], off offset:104
	global_load_b64 v[17:18], v[7:8], off offset:8
	s_wait_loadcnt 0x0
	v_fma_f64 v[3:4], v[15:16], v[17:18], v[3:4]
.LBB0_31:                               ;   in Loop: Header=BB0_3 Depth=1
	s_wait_alu 0xfffe
	s_or_b32 exec_lo, exec_lo, s13
	s_and_b32 s13, s74, s3
	s_wait_alu 0xfffe
	s_and_b32 s13, s13, s11
	s_wait_alu 0xfffe
	;; [unrolled: 2-line block ×3, first 2 shown]
	s_and_b32 s74, s13, s4
	s_delay_alu instid0(SALU_CYCLE_1)
	s_and_saveexec_b32 s13, s74
	s_cbranch_execz .LBB0_33
; %bb.32:                               ;   in Loop: Header=BB0_3 Depth=1
	global_load_b64 v[15:16], v[5:6], off offset:112
	global_load_b64 v[17:18], v[7:8], off offset:16
	s_wait_loadcnt 0x0
	v_fma_f64 v[3:4], v[15:16], v[17:18], v[3:4]
.LBB0_33:                               ;   in Loop: Header=BB0_3 Depth=1
	s_wait_alu 0xfffe
	s_or_b32 exec_lo, exec_lo, s13
	s_and_b32 s13, s12, s10
	s_wait_alu 0xfffe
	s_and_b32 s12, s13, s1
	s_wait_alu 0xfffe
	s_and_b32 s74, s12, s11
	v_add_co_u32 v7, s12, v7, s54
	s_wait_alu 0xf1ff
	v_add_co_ci_u32_e64 v8, null, s55, v8, s12
	s_and_b32 s12, s74, s8
	s_wait_alu 0xfffe
	s_and_b32 s74, s12, vcc_lo
	s_delay_alu instid0(SALU_CYCLE_1)
	s_and_saveexec_b32 s12, s74
	s_cbranch_execz .LBB0_35
; %bb.34:                               ;   in Loop: Header=BB0_3 Depth=1
	global_load_b64 v[15:16], v[5:6], off offset:120
	global_load_b64 v[17:18], v[7:8], off
	s_wait_loadcnt 0x0
	v_fma_f64 v[3:4], v[15:16], v[17:18], v[3:4]
.LBB0_35:                               ;   in Loop: Header=BB0_3 Depth=1
	s_wait_alu 0xfffe
	s_or_b32 exec_lo, exec_lo, s12
	s_and_b32 s12, s13, s0
	s_wait_alu 0xfffe
	s_and_b32 s12, s12, s11
	s_wait_alu 0xfffe
	;; [unrolled: 2-line block ×3, first 2 shown]
	s_and_b32 s74, s12, s2
	s_delay_alu instid0(SALU_CYCLE_1)
	s_and_saveexec_b32 s12, s74
	s_cbranch_execz .LBB0_37
; %bb.36:                               ;   in Loop: Header=BB0_3 Depth=1
	global_load_b64 v[15:16], v[5:6], off offset:128
	global_load_b64 v[17:18], v[7:8], off offset:8
	s_wait_loadcnt 0x0
	v_fma_f64 v[3:4], v[15:16], v[17:18], v[3:4]
.LBB0_37:                               ;   in Loop: Header=BB0_3 Depth=1
	s_wait_alu 0xfffe
	s_or_b32 exec_lo, exec_lo, s12
	s_and_b32 s12, s13, s3
	s_wait_alu 0xfffe
	s_and_b32 s11, s12, s11
	s_wait_alu 0xfffe
	;; [unrolled: 2-line block ×4, first 2 shown]
	s_and_saveexec_b32 s11, s12
	s_cbranch_execz .LBB0_39
; %bb.38:                               ;   in Loop: Header=BB0_3 Depth=1
	global_load_b64 v[15:16], v[5:6], off offset:136
	global_load_b64 v[17:18], v[7:8], off offset:16
	s_wait_loadcnt 0x0
	v_fma_f64 v[3:4], v[15:16], v[17:18], v[3:4]
.LBB0_39:                               ;   in Loop: Header=BB0_3 Depth=1
	s_wait_alu 0xfffe
	s_or_b32 exec_lo, exec_lo, s11
	v_cmp_lt_i32_e64 s11, -3, v14
	v_add_nc_u32_e32 v14, 2, v14
	v_add_co_u32 v7, s12, v7, s54
	s_wait_alu 0xf1ff
	v_add_co_ci_u32_e64 v8, null, s55, v8, s12
	s_and_b32 s13, s11, s6
	v_cmp_gt_i32_e64 s6, s17, v14
	s_wait_alu 0xfffe
	s_and_b32 s74, s13, s1
	v_add_co_u32 v7, s12, v7, s56
	s_wait_alu 0xf1ff
	v_add_co_ci_u32_e64 v8, null, s57, v8, s12
	s_and_b32 s74, s74, s6
	s_delay_alu instid0(SALU_CYCLE_1) | instskip(SKIP_2) | instid1(SALU_CYCLE_1)
	s_and_b32 s12, s74, s5
	s_wait_alu 0xfffe
	s_and_b32 s74, s12, vcc_lo
	s_and_saveexec_b32 s12, s74
	s_cbranch_execz .LBB0_41
; %bb.40:                               ;   in Loop: Header=BB0_3 Depth=1
	global_load_b64 v[14:15], v[5:6], off offset:144
	global_load_b64 v[16:17], v[7:8], off
	s_wait_loadcnt 0x0
	v_fma_f64 v[3:4], v[14:15], v[16:17], v[3:4]
.LBB0_41:                               ;   in Loop: Header=BB0_3 Depth=1
	s_wait_alu 0xfffe
	s_or_b32 exec_lo, exec_lo, s12
	s_and_b32 s12, s13, s0
	s_wait_alu 0xfffe
	s_and_b32 s12, s12, s6
	s_wait_alu 0xfffe
	;; [unrolled: 2-line block ×3, first 2 shown]
	s_and_b32 s74, s12, s2
	s_delay_alu instid0(SALU_CYCLE_1)
	s_and_saveexec_b32 s12, s74
	s_cbranch_execz .LBB0_43
; %bb.42:                               ;   in Loop: Header=BB0_3 Depth=1
	global_load_b64 v[14:15], v[5:6], off offset:152
	global_load_b64 v[16:17], v[7:8], off offset:8
	s_wait_loadcnt 0x0
	v_fma_f64 v[3:4], v[14:15], v[16:17], v[3:4]
.LBB0_43:                               ;   in Loop: Header=BB0_3 Depth=1
	s_wait_alu 0xfffe
	s_or_b32 exec_lo, exec_lo, s12
	s_and_b32 s12, s13, s3
	s_wait_alu 0xfffe
	s_and_b32 s12, s12, s6
	s_wait_alu 0xfffe
	;; [unrolled: 2-line block ×4, first 2 shown]
	s_and_saveexec_b32 s5, s12
	s_cbranch_execz .LBB0_45
; %bb.44:                               ;   in Loop: Header=BB0_3 Depth=1
	global_load_b64 v[14:15], v[5:6], off offset:160
	global_load_b64 v[16:17], v[7:8], off offset:16
	s_wait_loadcnt 0x0
	v_fma_f64 v[3:4], v[14:15], v[16:17], v[3:4]
.LBB0_45:                               ;   in Loop: Header=BB0_3 Depth=1
	s_wait_alu 0xfffe
	s_or_b32 exec_lo, exec_lo, s5
	s_and_b32 s9, s11, s9
	s_wait_alu 0xfffe
	s_and_b32 s5, s9, s1
	s_wait_alu 0xfffe
	s_and_b32 s12, s5, s6
	v_add_co_u32 v7, s5, v7, s54
	s_wait_alu 0xf1ff
	v_add_co_ci_u32_e64 v8, null, s55, v8, s5
	s_wait_alu 0xfffe
	s_and_b32 s5, s12, s7
	s_wait_alu 0xfffe
	s_and_b32 s12, s5, vcc_lo
	s_wait_alu 0xfffe
	s_and_saveexec_b32 s5, s12
	s_cbranch_execz .LBB0_47
; %bb.46:                               ;   in Loop: Header=BB0_3 Depth=1
	global_load_b64 v[14:15], v[5:6], off offset:168
	global_load_b64 v[16:17], v[7:8], off
	s_wait_loadcnt 0x0
	v_fma_f64 v[3:4], v[14:15], v[16:17], v[3:4]
.LBB0_47:                               ;   in Loop: Header=BB0_3 Depth=1
	s_wait_alu 0xfffe
	s_or_b32 exec_lo, exec_lo, s5
	s_and_b32 s5, s9, s0
	s_wait_alu 0xfffe
	s_and_b32 s5, s5, s6
	s_wait_alu 0xfffe
	;; [unrolled: 2-line block ×4, first 2 shown]
	s_and_saveexec_b32 s5, s12
	s_cbranch_execz .LBB0_49
; %bb.48:                               ;   in Loop: Header=BB0_3 Depth=1
	global_load_b64 v[14:15], v[5:6], off offset:176
	global_load_b64 v[16:17], v[7:8], off offset:8
	s_wait_loadcnt 0x0
	v_fma_f64 v[3:4], v[14:15], v[16:17], v[3:4]
.LBB0_49:                               ;   in Loop: Header=BB0_3 Depth=1
	s_wait_alu 0xfffe
	s_or_b32 exec_lo, exec_lo, s5
	s_and_b32 s5, s9, s3
	s_wait_alu 0xfffe
	s_and_b32 s5, s5, s6
	s_wait_alu 0xfffe
	;; [unrolled: 2-line block ×3, first 2 shown]
	s_and_b32 s7, s5, s4
	s_delay_alu instid0(SALU_CYCLE_1)
	s_and_saveexec_b32 s5, s7
	s_cbranch_execz .LBB0_51
; %bb.50:                               ;   in Loop: Header=BB0_3 Depth=1
	global_load_b64 v[14:15], v[5:6], off offset:184
	global_load_b64 v[16:17], v[7:8], off offset:16
	s_wait_loadcnt 0x0
	v_fma_f64 v[3:4], v[14:15], v[16:17], v[3:4]
.LBB0_51:                               ;   in Loop: Header=BB0_3 Depth=1
	s_wait_alu 0xfffe
	s_or_b32 exec_lo, exec_lo, s5
	s_and_b32 s5, s11, s10
	s_wait_alu 0xfffe
	s_and_b32 s1, s5, s1
	s_wait_alu 0xfffe
	s_and_b32 s7, s1, s6
	v_add_co_u32 v7, s1, v7, s54
	s_wait_alu 0xf1ff
	v_add_co_ci_u32_e64 v8, null, s55, v8, s1
	s_and_b32 s1, s7, s8
	s_wait_alu 0xfffe
	s_and_b32 s7, s1, vcc_lo
	s_delay_alu instid0(SALU_CYCLE_1)
	s_and_saveexec_b32 s1, s7
	s_cbranch_execz .LBB0_53
; %bb.52:                               ;   in Loop: Header=BB0_3 Depth=1
	global_load_b64 v[14:15], v[5:6], off offset:192
	global_load_b64 v[16:17], v[7:8], off
	s_wait_loadcnt 0x0
	v_fma_f64 v[3:4], v[14:15], v[16:17], v[3:4]
.LBB0_53:                               ;   in Loop: Header=BB0_3 Depth=1
	s_wait_alu 0xfffe
	s_or_b32 exec_lo, exec_lo, s1
	s_and_b32 s0, s5, s0
	s_wait_alu 0xfffe
	s_and_b32 s0, s0, s6
	s_wait_alu 0xfffe
	;; [unrolled: 2-line block ×4, first 2 shown]
	s_and_saveexec_b32 s0, s1
	s_cbranch_execz .LBB0_55
; %bb.54:                               ;   in Loop: Header=BB0_3 Depth=1
	global_load_b64 v[14:15], v[5:6], off offset:200
	global_load_b64 v[16:17], v[7:8], off offset:8
	s_wait_loadcnt 0x0
	v_fma_f64 v[3:4], v[14:15], v[16:17], v[3:4]
.LBB0_55:                               ;   in Loop: Header=BB0_3 Depth=1
	s_wait_alu 0xfffe
	s_or_b32 exec_lo, exec_lo, s0
	s_and_b32 s0, s5, s3
	s_wait_alu 0xfffe
	s_and_b32 s0, s0, s6
	s_wait_alu 0xfffe
	;; [unrolled: 2-line block ×4, first 2 shown]
	s_and_saveexec_b32 s0, s1
	s_cbranch_execz .LBB0_57
; %bb.56:                               ;   in Loop: Header=BB0_3 Depth=1
	global_load_b64 v[5:6], v[5:6], off offset:208
	global_load_b64 v[7:8], v[7:8], off offset:16
	s_wait_loadcnt 0x0
	v_fma_f64 v[3:4], v[5:6], v[7:8], v[3:4]
.LBB0_57:                               ;   in Loop: Header=BB0_3 Depth=1
	s_wait_alu 0xfffe
	s_or_b32 exec_lo, exec_lo, s0
	s_delay_alu instid0(SALU_CYCLE_1)
	s_and_not1_b32 vcc_lo, exec_lo, s33
	s_wait_alu 0xfffe
	s_cbranch_vccnz .LBB0_2
; %bb.58:                               ;   in Loop: Header=BB0_3 Depth=1
	v_lshlrev_b64_e32 v[5:6], 3, v[1:2]
	s_delay_alu instid0(VALU_DEP_1) | instskip(SKIP_1) | instid1(VALU_DEP_2)
	v_add_co_u32 v5, vcc_lo, s44, v5
	s_wait_alu 0xfffd
	v_add_co_ci_u32_e64 v6, null, s45, v6, vcc_lo
	global_load_b64 v[5:6], v[5:6], off
	s_wait_loadcnt 0x0
	v_add_f64_e32 v[3:4], v[3:4], v[5:6]
	s_branch .LBB0_2
.LBB0_59:
	s_endpgm
	.section	.rodata,"a",@progbits
	.p2align	6, 0x0
	.amdhsa_kernel _ZN2at6native12_GLOBAL__N_128conv_depthwise3d_cuda_kernelIddLi3ELi3ELi3ELi1ELi1ELi1EEEvN5torch10headeronly6detail27GenericPackedTensorAccessorINS5_14TensorAccessorIN3c108ArrayRefIlEEKT_Lm4ENS4_16DefaultPtrTraitsEiEENS_6detail16IndexBoundsCheckILm5EiEESC_Lm5ESD_iEENS6_INS7_ISA_SB_Lm4ESD_iEESH_SB_Lm5ESD_iEESI_PSC_iiiiiiiii
		.amdhsa_group_segment_fixed_size 0
		.amdhsa_private_segment_fixed_size 0
		.amdhsa_kernarg_size 448
		.amdhsa_user_sgpr_count 2
		.amdhsa_user_sgpr_dispatch_ptr 0
		.amdhsa_user_sgpr_queue_ptr 0
		.amdhsa_user_sgpr_kernarg_segment_ptr 1
		.amdhsa_user_sgpr_dispatch_id 0
		.amdhsa_user_sgpr_private_segment_size 0
		.amdhsa_wavefront_size32 1
		.amdhsa_uses_dynamic_stack 0
		.amdhsa_enable_private_segment 0
		.amdhsa_system_sgpr_workgroup_id_x 1
		.amdhsa_system_sgpr_workgroup_id_y 0
		.amdhsa_system_sgpr_workgroup_id_z 0
		.amdhsa_system_sgpr_workgroup_info 0
		.amdhsa_system_vgpr_workitem_id 0
		.amdhsa_next_free_vgpr 25
		.amdhsa_next_free_sgpr 76
		.amdhsa_reserve_vcc 1
		.amdhsa_float_round_mode_32 0
		.amdhsa_float_round_mode_16_64 0
		.amdhsa_float_denorm_mode_32 3
		.amdhsa_float_denorm_mode_16_64 3
		.amdhsa_fp16_overflow 0
		.amdhsa_workgroup_processor_mode 1
		.amdhsa_memory_ordered 1
		.amdhsa_forward_progress 1
		.amdhsa_inst_pref_size 37
		.amdhsa_round_robin_scheduling 0
		.amdhsa_exception_fp_ieee_invalid_op 0
		.amdhsa_exception_fp_denorm_src 0
		.amdhsa_exception_fp_ieee_div_zero 0
		.amdhsa_exception_fp_ieee_overflow 0
		.amdhsa_exception_fp_ieee_underflow 0
		.amdhsa_exception_fp_ieee_inexact 0
		.amdhsa_exception_int_div_zero 0
	.end_amdhsa_kernel
	.section	.text._ZN2at6native12_GLOBAL__N_128conv_depthwise3d_cuda_kernelIddLi3ELi3ELi3ELi1ELi1ELi1EEEvN5torch10headeronly6detail27GenericPackedTensorAccessorINS5_14TensorAccessorIN3c108ArrayRefIlEEKT_Lm4ENS4_16DefaultPtrTraitsEiEENS_6detail16IndexBoundsCheckILm5EiEESC_Lm5ESD_iEENS6_INS7_ISA_SB_Lm4ESD_iEESH_SB_Lm5ESD_iEESI_PSC_iiiiiiiii,"axG",@progbits,_ZN2at6native12_GLOBAL__N_128conv_depthwise3d_cuda_kernelIddLi3ELi3ELi3ELi1ELi1ELi1EEEvN5torch10headeronly6detail27GenericPackedTensorAccessorINS5_14TensorAccessorIN3c108ArrayRefIlEEKT_Lm4ENS4_16DefaultPtrTraitsEiEENS_6detail16IndexBoundsCheckILm5EiEESC_Lm5ESD_iEENS6_INS7_ISA_SB_Lm4ESD_iEESH_SB_Lm5ESD_iEESI_PSC_iiiiiiiii,comdat
.Lfunc_end0:
	.size	_ZN2at6native12_GLOBAL__N_128conv_depthwise3d_cuda_kernelIddLi3ELi3ELi3ELi1ELi1ELi1EEEvN5torch10headeronly6detail27GenericPackedTensorAccessorINS5_14TensorAccessorIN3c108ArrayRefIlEEKT_Lm4ENS4_16DefaultPtrTraitsEiEENS_6detail16IndexBoundsCheckILm5EiEESC_Lm5ESD_iEENS6_INS7_ISA_SB_Lm4ESD_iEESH_SB_Lm5ESD_iEESI_PSC_iiiiiiiii, .Lfunc_end0-_ZN2at6native12_GLOBAL__N_128conv_depthwise3d_cuda_kernelIddLi3ELi3ELi3ELi1ELi1ELi1EEEvN5torch10headeronly6detail27GenericPackedTensorAccessorINS5_14TensorAccessorIN3c108ArrayRefIlEEKT_Lm4ENS4_16DefaultPtrTraitsEiEENS_6detail16IndexBoundsCheckILm5EiEESC_Lm5ESD_iEENS6_INS7_ISA_SB_Lm4ESD_iEESH_SB_Lm5ESD_iEESI_PSC_iiiiiiiii
                                        ; -- End function
	.set _ZN2at6native12_GLOBAL__N_128conv_depthwise3d_cuda_kernelIddLi3ELi3ELi3ELi1ELi1ELi1EEEvN5torch10headeronly6detail27GenericPackedTensorAccessorINS5_14TensorAccessorIN3c108ArrayRefIlEEKT_Lm4ENS4_16DefaultPtrTraitsEiEENS_6detail16IndexBoundsCheckILm5EiEESC_Lm5ESD_iEENS6_INS7_ISA_SB_Lm4ESD_iEESH_SB_Lm5ESD_iEESI_PSC_iiiiiiiii.num_vgpr, 25
	.set _ZN2at6native12_GLOBAL__N_128conv_depthwise3d_cuda_kernelIddLi3ELi3ELi3ELi1ELi1ELi1EEEvN5torch10headeronly6detail27GenericPackedTensorAccessorINS5_14TensorAccessorIN3c108ArrayRefIlEEKT_Lm4ENS4_16DefaultPtrTraitsEiEENS_6detail16IndexBoundsCheckILm5EiEESC_Lm5ESD_iEENS6_INS7_ISA_SB_Lm4ESD_iEESH_SB_Lm5ESD_iEESI_PSC_iiiiiiiii.num_agpr, 0
	.set _ZN2at6native12_GLOBAL__N_128conv_depthwise3d_cuda_kernelIddLi3ELi3ELi3ELi1ELi1ELi1EEEvN5torch10headeronly6detail27GenericPackedTensorAccessorINS5_14TensorAccessorIN3c108ArrayRefIlEEKT_Lm4ENS4_16DefaultPtrTraitsEiEENS_6detail16IndexBoundsCheckILm5EiEESC_Lm5ESD_iEENS6_INS7_ISA_SB_Lm4ESD_iEESH_SB_Lm5ESD_iEESI_PSC_iiiiiiiii.numbered_sgpr, 76
	.set _ZN2at6native12_GLOBAL__N_128conv_depthwise3d_cuda_kernelIddLi3ELi3ELi3ELi1ELi1ELi1EEEvN5torch10headeronly6detail27GenericPackedTensorAccessorINS5_14TensorAccessorIN3c108ArrayRefIlEEKT_Lm4ENS4_16DefaultPtrTraitsEiEENS_6detail16IndexBoundsCheckILm5EiEESC_Lm5ESD_iEENS6_INS7_ISA_SB_Lm4ESD_iEESH_SB_Lm5ESD_iEESI_PSC_iiiiiiiii.num_named_barrier, 0
	.set _ZN2at6native12_GLOBAL__N_128conv_depthwise3d_cuda_kernelIddLi3ELi3ELi3ELi1ELi1ELi1EEEvN5torch10headeronly6detail27GenericPackedTensorAccessorINS5_14TensorAccessorIN3c108ArrayRefIlEEKT_Lm4ENS4_16DefaultPtrTraitsEiEENS_6detail16IndexBoundsCheckILm5EiEESC_Lm5ESD_iEENS6_INS7_ISA_SB_Lm4ESD_iEESH_SB_Lm5ESD_iEESI_PSC_iiiiiiiii.private_seg_size, 0
	.set _ZN2at6native12_GLOBAL__N_128conv_depthwise3d_cuda_kernelIddLi3ELi3ELi3ELi1ELi1ELi1EEEvN5torch10headeronly6detail27GenericPackedTensorAccessorINS5_14TensorAccessorIN3c108ArrayRefIlEEKT_Lm4ENS4_16DefaultPtrTraitsEiEENS_6detail16IndexBoundsCheckILm5EiEESC_Lm5ESD_iEENS6_INS7_ISA_SB_Lm4ESD_iEESH_SB_Lm5ESD_iEESI_PSC_iiiiiiiii.uses_vcc, 1
	.set _ZN2at6native12_GLOBAL__N_128conv_depthwise3d_cuda_kernelIddLi3ELi3ELi3ELi1ELi1ELi1EEEvN5torch10headeronly6detail27GenericPackedTensorAccessorINS5_14TensorAccessorIN3c108ArrayRefIlEEKT_Lm4ENS4_16DefaultPtrTraitsEiEENS_6detail16IndexBoundsCheckILm5EiEESC_Lm5ESD_iEENS6_INS7_ISA_SB_Lm4ESD_iEESH_SB_Lm5ESD_iEESI_PSC_iiiiiiiii.uses_flat_scratch, 0
	.set _ZN2at6native12_GLOBAL__N_128conv_depthwise3d_cuda_kernelIddLi3ELi3ELi3ELi1ELi1ELi1EEEvN5torch10headeronly6detail27GenericPackedTensorAccessorINS5_14TensorAccessorIN3c108ArrayRefIlEEKT_Lm4ENS4_16DefaultPtrTraitsEiEENS_6detail16IndexBoundsCheckILm5EiEESC_Lm5ESD_iEENS6_INS7_ISA_SB_Lm4ESD_iEESH_SB_Lm5ESD_iEESI_PSC_iiiiiiiii.has_dyn_sized_stack, 0
	.set _ZN2at6native12_GLOBAL__N_128conv_depthwise3d_cuda_kernelIddLi3ELi3ELi3ELi1ELi1ELi1EEEvN5torch10headeronly6detail27GenericPackedTensorAccessorINS5_14TensorAccessorIN3c108ArrayRefIlEEKT_Lm4ENS4_16DefaultPtrTraitsEiEENS_6detail16IndexBoundsCheckILm5EiEESC_Lm5ESD_iEENS6_INS7_ISA_SB_Lm4ESD_iEESH_SB_Lm5ESD_iEESI_PSC_iiiiiiiii.has_recursion, 0
	.set _ZN2at6native12_GLOBAL__N_128conv_depthwise3d_cuda_kernelIddLi3ELi3ELi3ELi1ELi1ELi1EEEvN5torch10headeronly6detail27GenericPackedTensorAccessorINS5_14TensorAccessorIN3c108ArrayRefIlEEKT_Lm4ENS4_16DefaultPtrTraitsEiEENS_6detail16IndexBoundsCheckILm5EiEESC_Lm5ESD_iEENS6_INS7_ISA_SB_Lm4ESD_iEESH_SB_Lm5ESD_iEESI_PSC_iiiiiiiii.has_indirect_call, 0
	.section	.AMDGPU.csdata,"",@progbits
; Kernel info:
; codeLenInByte = 4624
; TotalNumSgprs: 78
; NumVgprs: 25
; ScratchSize: 0
; MemoryBound: 1
; FloatMode: 240
; IeeeMode: 1
; LDSByteSize: 0 bytes/workgroup (compile time only)
; SGPRBlocks: 0
; VGPRBlocks: 3
; NumSGPRsForWavesPerEU: 78
; NumVGPRsForWavesPerEU: 25
; Occupancy: 16
; WaveLimiterHint : 0
; COMPUTE_PGM_RSRC2:SCRATCH_EN: 0
; COMPUTE_PGM_RSRC2:USER_SGPR: 2
; COMPUTE_PGM_RSRC2:TRAP_HANDLER: 0
; COMPUTE_PGM_RSRC2:TGID_X_EN: 1
; COMPUTE_PGM_RSRC2:TGID_Y_EN: 0
; COMPUTE_PGM_RSRC2:TGID_Z_EN: 0
; COMPUTE_PGM_RSRC2:TIDIG_COMP_CNT: 0
	.section	.text._ZN2at6native12_GLOBAL__N_128conv_depthwise3d_cuda_kernelIddLin1ELin1ELin1ELi1ELi1ELi1EEEvN5torch10headeronly6detail27GenericPackedTensorAccessorINS5_14TensorAccessorIN3c108ArrayRefIlEEKT_Lm4ENS4_16DefaultPtrTraitsEiEENS_6detail16IndexBoundsCheckILm5EiEESC_Lm5ESD_iEENS6_INS7_ISA_SB_Lm4ESD_iEESH_SB_Lm5ESD_iEESI_PSC_iiiiiiiii,"axG",@progbits,_ZN2at6native12_GLOBAL__N_128conv_depthwise3d_cuda_kernelIddLin1ELin1ELin1ELi1ELi1ELi1EEEvN5torch10headeronly6detail27GenericPackedTensorAccessorINS5_14TensorAccessorIN3c108ArrayRefIlEEKT_Lm4ENS4_16DefaultPtrTraitsEiEENS_6detail16IndexBoundsCheckILm5EiEESC_Lm5ESD_iEENS6_INS7_ISA_SB_Lm4ESD_iEESH_SB_Lm5ESD_iEESI_PSC_iiiiiiiii,comdat
	.globl	_ZN2at6native12_GLOBAL__N_128conv_depthwise3d_cuda_kernelIddLin1ELin1ELin1ELi1ELi1ELi1EEEvN5torch10headeronly6detail27GenericPackedTensorAccessorINS5_14TensorAccessorIN3c108ArrayRefIlEEKT_Lm4ENS4_16DefaultPtrTraitsEiEENS_6detail16IndexBoundsCheckILm5EiEESC_Lm5ESD_iEENS6_INS7_ISA_SB_Lm4ESD_iEESH_SB_Lm5ESD_iEESI_PSC_iiiiiiiii ; -- Begin function _ZN2at6native12_GLOBAL__N_128conv_depthwise3d_cuda_kernelIddLin1ELin1ELin1ELi1ELi1ELi1EEEvN5torch10headeronly6detail27GenericPackedTensorAccessorINS5_14TensorAccessorIN3c108ArrayRefIlEEKT_Lm4ENS4_16DefaultPtrTraitsEiEENS_6detail16IndexBoundsCheckILm5EiEESC_Lm5ESD_iEENS6_INS7_ISA_SB_Lm4ESD_iEESH_SB_Lm5ESD_iEESI_PSC_iiiiiiiii
	.p2align	8
	.type	_ZN2at6native12_GLOBAL__N_128conv_depthwise3d_cuda_kernelIddLin1ELin1ELin1ELi1ELi1ELi1EEEvN5torch10headeronly6detail27GenericPackedTensorAccessorINS5_14TensorAccessorIN3c108ArrayRefIlEEKT_Lm4ENS4_16DefaultPtrTraitsEiEENS_6detail16IndexBoundsCheckILm5EiEESC_Lm5ESD_iEENS6_INS7_ISA_SB_Lm4ESD_iEESH_SB_Lm5ESD_iEESI_PSC_iiiiiiiii,@function
_ZN2at6native12_GLOBAL__N_128conv_depthwise3d_cuda_kernelIddLin1ELin1ELin1ELi1ELi1ELi1EEEvN5torch10headeronly6detail27GenericPackedTensorAccessorINS5_14TensorAccessorIN3c108ArrayRefIlEEKT_Lm4ENS4_16DefaultPtrTraitsEiEENS_6detail16IndexBoundsCheckILm5EiEESC_Lm5ESD_iEENS6_INS7_ISA_SB_Lm4ESD_iEESH_SB_Lm5ESD_iEESI_PSC_iiiiiiiii: ; @_ZN2at6native12_GLOBAL__N_128conv_depthwise3d_cuda_kernelIddLin1ELin1ELin1ELi1ELi1ELi1EEEvN5torch10headeronly6detail27GenericPackedTensorAccessorINS5_14TensorAccessorIN3c108ArrayRefIlEEKT_Lm4ENS4_16DefaultPtrTraitsEiEENS_6detail16IndexBoundsCheckILm5EiEESC_Lm5ESD_iEENS6_INS7_ISA_SB_Lm4ESD_iEESH_SB_Lm5ESD_iEESI_PSC_iiiiiiiii
; %bb.0:
	s_clause 0x3
	s_load_b128 s[4:7], s[0:1], 0xc
	s_load_b32 s2, s[0:1], 0xcc
	s_load_b64 s[28:29], s[0:1], 0x48
	s_load_b128 s[8:11], s[0:1], 0x38
	v_mov_b32_e32 v1, 0
	s_wait_kmcnt 0x0
	s_abs_i32 s16, s4
	s_and_b32 s2, s2, 0xffff
	s_cvt_f32_u32 s3, s16
	v_mad_co_u64_u32 v[0:1], null, s2, ttmp9, v[0:1]
	s_mul_i32 s30, s29, s8
	s_delay_alu instid0(SALU_CYCLE_1) | instskip(SKIP_2) | instid1(TRANS32_DEP_1)
	v_rcp_iflag_f32_e32 v2, s3
	s_ashr_i32 s31, s30, 31
	s_mov_b32 s8, exec_lo
	v_readfirstlane_b32 s3, v2
	v_cmpx_gt_i64_e64 s[30:31], v[0:1]
	s_cbranch_execz .LBB1_17
; %bb.1:
	s_mul_f32 s3, s3, 0x4f7ffffe
	s_sub_co_i32 s8, 0, s16
	s_mov_b32 s35, 0
	s_abs_i32 s34, s9
	s_wait_alu 0xfffe
	s_cvt_u32_f32 s3, s3
	s_mov_b32 s13, s35
	s_ashr_i32 s4, s4, 31
	s_add_nc_u64 s[24:25], s[0:1], 0xc0
	s_wait_alu 0xfffe
	s_mul_i32 s8, s8, s3
	s_load_b64 s[36:37], s[0:1], 0x90
	s_mul_hi_u32 s8, s3, s8
	s_delay_alu instid0(SALU_CYCLE_1)
	s_add_co_i32 s12, s3, s8
	s_ashr_i32 s3, s9, 31
	s_mul_u64 s[18:19], s[34:35], s[12:13]
	s_load_b128 s[12:15], s[0:1], 0x70
	s_mul_i32 s8, s19, s16
	s_xor_b32 s4, s3, s4
	s_sub_co_i32 s8, s34, s8
	s_add_co_i32 s17, s19, 1
	s_sub_co_i32 s18, s8, s16
	s_cmp_ge_u32 s8, s16
	s_cselect_b32 s17, s17, s19
	s_cselect_b32 s8, s18, s8
	s_add_co_i32 s18, s17, 1
	s_cmp_ge_u32 s8, s16
	s_cselect_b32 s8, s18, s17
	s_clause 0x1
	s_load_b128 s[16:19], s[0:1], 0x98
	s_load_b64 s[38:39], s[0:1], 0xa8
	s_xor_b32 s8, s8, s4
	s_clause 0x1
	s_load_b64 s[40:41], s[0:1], 0x0
	s_load_b128 s[20:23], s[0:1], 0x1c
	s_sub_co_i32 s64, s8, s4
	s_load_b32 s55, s[24:25], 0x0
	s_cvt_f32_u32 s24, s34
	s_wait_kmcnt 0x0
	s_cmp_gt_i32 s12, 0
	s_clause 0x1
	s_load_b32 s53, s[0:1], 0x2c
	s_load_b64 s[42:43], s[0:1], 0x30
	s_cselect_b32 s4, -1, 0
	s_cmp_gt_i32 s13, 0
	v_rcp_iflag_f32_e32 v2, s24
	s_cselect_b32 s8, -1, 0
	s_cmp_gt_i32 s14, 0
	s_cselect_b32 s33, -1, 0
	s_sub_co_i32 s25, s6, s13
	s_sub_co_i32 s46, s7, s14
	s_wait_alu 0xfffe
	s_mul_i32 s48, s7, s25
	s_ashr_i32 s47, s46, 31
	s_ashr_i32 s49, s48, 31
	s_cmp_lg_u64 s[36:37], 0
	s_cselect_b32 s50, -1, 0
	s_abs_i32 s51, s28
	s_abs_i32 s52, s11
	s_cvt_f32_u32 s24, s51
	s_cvt_f32_u32 s25, s52
	s_abs_i32 s54, s10
	s_abs_i32 s58, s64
	s_wait_alu 0xfffe
	v_rcp_iflag_f32_e32 v3, s24
	v_rcp_iflag_f32_e32 v4, s25
	s_cvt_f32_u32 s56, s54
	s_clause 0x1
	s_load_b64 s[44:45], s[0:1], 0x60
	s_load_b128 s[24:27], s[0:1], 0x50
	v_readfirstlane_b32 s0, v2
	s_mul_i32 s55, s55, s2
	v_rcp_iflag_f32_e32 v2, s56
	s_cvt_f32_u32 s60, s58
	s_sub_co_i32 s59, 0, s51
	s_sub_co_i32 s62, 0, s52
	v_readfirstlane_b32 s1, v3
	v_readfirstlane_b32 s2, v4
	s_mul_f32 s0, s0, 0x4f7ffffe
	s_sub_co_i32 s65, 0, s34
	s_ashr_i32 s56, s28, 31
	s_mul_f32 s1, s1, 0x4f7ffffe
	s_mul_f32 s2, s2, 0x4f7ffffe
	v_readfirstlane_b32 s61, v2
	v_rcp_iflag_f32_e32 v2, s60
	s_wait_alu 0xfffe
	s_cvt_u32_f32 s1, s1
	s_cvt_u32_f32 s2, s2
	;; [unrolled: 1-line block ×3, first 2 shown]
	s_mul_f32 s61, s61, 0x4f7ffffe
	s_wait_alu 0xfffe
	s_mul_i32 s59, s59, s1
	s_mul_i32 s62, s62, s2
	s_mul_hi_u32 s59, s1, s59
	s_mul_hi_u32 s60, s2, s62
	s_add_co_i32 s59, s1, s59
	v_readfirstlane_b32 s62, v2
	s_cvt_u32_f32 s1, s61
	s_wait_alu 0xfffe
	s_add_co_i32 s60, s2, s60
	s_sub_co_i32 s2, 0, s54
	s_mul_i32 s65, s65, s0
	s_wait_alu 0xfffe
	s_mul_i32 s2, s2, s1
	s_mul_f32 s63, s62, 0x4f7ffffe
	s_wait_alu 0xfffe
	s_mul_hi_u32 s2, s1, s2
	s_ashr_i32 s57, s11, 31
	s_wait_alu 0xfffe
	s_add_co_i32 s62, s1, s2
	s_cvt_u32_f32 s1, s63
	s_mul_hi_u32 s2, s0, s65
	s_sub_co_i32 s65, 0, s58
	s_wait_alu 0xfffe
	s_add_co_i32 s63, s0, s2
	s_mul_i32 s65, s65, s1
	s_ashr_i32 s61, s10, 31
	s_mul_hi_u32 s0, s1, s65
	s_ashr_i32 s64, s64, 31
	s_wait_alu 0xfffe
	s_add_co_i32 s65, s1, s0
	s_lshl_b64 s[46:47], s[46:47], 3
	s_lshl_b64 s[48:49], s[48:49], 3
	s_branch .LBB1_3
.LBB1_2:                                ;   in Loop: Header=BB1_3 Depth=1
	v_mul_lo_u32 v6, v13, s29
	s_wait_kmcnt 0x0
	v_mul_lo_u32 v2, s24, v2
	v_mul_lo_u32 v8, s25, v12
	;; [unrolled: 1-line block ×3, first 2 shown]
	v_add_co_u32 v0, vcc_lo, v0, s55
	v_mul_lo_u32 v13, s27, v10
	s_wait_alu 0xfffd
	v_add_co_ci_u32_e64 v1, null, 0, v1, vcc_lo
	v_ashrrev_i32_e32 v7, 31, v6
	v_ashrrev_i32_e32 v3, 31, v2
	;; [unrolled: 1-line block ×4, first 2 shown]
	s_delay_alu instid0(VALU_DEP_4) | instskip(NEXT) | instid1(VALU_DEP_4)
	v_lshlrev_b64_e32 v[6:7], 3, v[6:7]
	v_lshlrev_b64_e32 v[2:3], 3, v[2:3]
	v_ashrrev_i32_e32 v14, 31, v13
	s_delay_alu instid0(VALU_DEP_3) | instskip(SKIP_1) | instid1(VALU_DEP_4)
	v_add_co_u32 v10, vcc_lo, s42, v6
	s_wait_alu 0xfffd
	v_add_co_ci_u32_e64 v15, null, s43, v7, vcc_lo
	v_lshlrev_b64_e32 v[6:7], 3, v[8:9]
	s_delay_alu instid0(VALU_DEP_3) | instskip(SKIP_1) | instid1(VALU_DEP_3)
	v_add_co_u32 v8, vcc_lo, v10, v2
	s_wait_alu 0xfffd
	v_add_co_ci_u32_e64 v9, null, v15, v3, vcc_lo
	v_lshlrev_b64_e32 v[2:3], 3, v[11:12]
	s_delay_alu instid0(VALU_DEP_3) | instskip(SKIP_1) | instid1(VALU_DEP_3)
	;; [unrolled: 5-line block ×3, first 2 shown]
	v_add_co_u32 v2, vcc_lo, v8, v2
	s_wait_alu 0xfffd
	v_add_co_ci_u32_e64 v3, null, v9, v3, vcc_lo
	v_cmp_le_i64_e32 vcc_lo, s[30:31], v[0:1]
	s_delay_alu instid0(VALU_DEP_3) | instskip(SKIP_1) | instid1(VALU_DEP_3)
	v_add_co_u32 v2, s0, v2, v6
	s_wait_alu 0xf1ff
	v_add_co_ci_u32_e64 v3, null, v3, v7, s0
	s_or_b32 s35, vcc_lo, s35
	global_store_b64 v[2:3], v[4:5], off
	s_wait_alu 0xfffe
	s_and_not1_b32 exec_lo, exec_lo, s35
	s_cbranch_execz .LBB1_17
.LBB1_3:                                ; =>This Loop Header: Depth=1
                                        ;     Child Loop BB1_6 Depth 2
                                        ;       Child Loop BB1_9 Depth 3
                                        ;         Child Loop BB1_12 Depth 4
	v_sub_nc_u32_e32 v2, 0, v0
	s_delay_alu instid0(VALU_DEP_1) | instskip(NEXT) | instid1(VALU_DEP_1)
	v_max_i32_e32 v2, v0, v2
	v_mul_hi_u32 v3, v2, s59
	s_delay_alu instid0(VALU_DEP_1) | instskip(NEXT) | instid1(VALU_DEP_1)
	v_mul_lo_u32 v4, v3, s51
	v_sub_nc_u32_e32 v2, v2, v4
	v_add_nc_u32_e32 v4, 1, v3
	s_delay_alu instid0(VALU_DEP_2) | instskip(SKIP_2) | instid1(VALU_DEP_2)
	v_subrev_nc_u32_e32 v5, s51, v2
	v_cmp_le_u32_e32 vcc_lo, s51, v2
	s_wait_alu 0xfffd
	v_dual_cndmask_b32 v3, v3, v4 :: v_dual_cndmask_b32 v2, v2, v5
	v_ashrrev_i32_e32 v4, 31, v0
	s_delay_alu instid0(VALU_DEP_2) | instskip(NEXT) | instid1(VALU_DEP_3)
	v_add_nc_u32_e32 v5, 1, v3
	v_cmp_le_u32_e32 vcc_lo, s51, v2
	s_delay_alu instid0(VALU_DEP_3) | instskip(SKIP_1) | instid1(VALU_DEP_3)
	v_xor_b32_e32 v4, s56, v4
	s_wait_alu 0xfffd
	v_cndmask_b32_e32 v2, v3, v5, vcc_lo
	s_delay_alu instid0(VALU_DEP_1) | instskip(NEXT) | instid1(VALU_DEP_1)
	v_xor_b32_e32 v2, v2, v4
	v_sub_nc_u32_e32 v3, v2, v4
	s_delay_alu instid0(VALU_DEP_1) | instskip(NEXT) | instid1(VALU_DEP_1)
	v_sub_nc_u32_e32 v2, 0, v3
	v_max_i32_e32 v2, v3, v2
	s_delay_alu instid0(VALU_DEP_1) | instskip(NEXT) | instid1(VALU_DEP_1)
	v_mul_hi_u32 v4, v2, s60
	v_mul_lo_u32 v5, v4, s52
	s_delay_alu instid0(VALU_DEP_1) | instskip(SKIP_1) | instid1(VALU_DEP_2)
	v_sub_nc_u32_e32 v2, v2, v5
	v_add_nc_u32_e32 v5, 1, v4
	v_subrev_nc_u32_e32 v6, s52, v2
	v_cmp_le_u32_e32 vcc_lo, s52, v2
	s_wait_alu 0xfffd
	s_delay_alu instid0(VALU_DEP_3) | instskip(NEXT) | instid1(VALU_DEP_3)
	v_cndmask_b32_e32 v4, v4, v5, vcc_lo
	v_cndmask_b32_e32 v2, v2, v6, vcc_lo
	v_ashrrev_i32_e32 v5, 31, v3
	s_delay_alu instid0(VALU_DEP_3) | instskip(NEXT) | instid1(VALU_DEP_3)
	v_add_nc_u32_e32 v6, 1, v4
	v_cmp_le_u32_e32 vcc_lo, s52, v2
	s_delay_alu instid0(VALU_DEP_3) | instskip(SKIP_1) | instid1(VALU_DEP_3)
	v_xor_b32_e32 v5, s57, v5
	s_wait_alu 0xfffd
	v_cndmask_b32_e32 v2, v4, v6, vcc_lo
	s_delay_alu instid0(VALU_DEP_1) | instskip(NEXT) | instid1(VALU_DEP_1)
	v_xor_b32_e32 v2, v2, v5
	v_sub_nc_u32_e32 v4, v2, v5
	s_delay_alu instid0(VALU_DEP_1) | instskip(NEXT) | instid1(VALU_DEP_1)
	v_sub_nc_u32_e32 v2, 0, v4
	v_max_i32_e32 v2, v4, v2
	s_delay_alu instid0(VALU_DEP_1) | instskip(NEXT) | instid1(VALU_DEP_1)
	v_mul_hi_u32 v5, v2, s62
	v_mul_lo_u32 v6, v5, s54
	s_delay_alu instid0(VALU_DEP_1) | instskip(SKIP_1) | instid1(VALU_DEP_2)
	v_sub_nc_u32_e32 v2, v2, v6
	v_add_nc_u32_e32 v6, 1, v5
	v_subrev_nc_u32_e32 v7, s54, v2
	v_cmp_le_u32_e32 vcc_lo, s54, v2
	s_wait_alu 0xfffd
	s_delay_alu instid0(VALU_DEP_2) | instskip(SKIP_1) | instid1(VALU_DEP_2)
	v_dual_cndmask_b32 v5, v5, v6 :: v_dual_cndmask_b32 v2, v2, v7
	v_ashrrev_i32_e32 v6, 31, v4
	v_add_nc_u32_e32 v7, 1, v5
	s_delay_alu instid0(VALU_DEP_3) | instskip(NEXT) | instid1(VALU_DEP_3)
	v_cmp_le_u32_e32 vcc_lo, s54, v2
	v_xor_b32_e32 v6, s61, v6
	s_wait_alu 0xfffd
	s_delay_alu instid0(VALU_DEP_3) | instskip(NEXT) | instid1(VALU_DEP_1)
	v_cndmask_b32_e32 v2, v5, v7, vcc_lo
	v_xor_b32_e32 v2, v2, v6
	s_delay_alu instid0(VALU_DEP_1) | instskip(NEXT) | instid1(VALU_DEP_1)
	v_sub_nc_u32_e32 v2, v2, v6
	v_sub_nc_u32_e32 v5, 0, v2
	s_delay_alu instid0(VALU_DEP_1) | instskip(NEXT) | instid1(VALU_DEP_1)
	v_max_i32_e32 v5, v2, v5
	v_mul_hi_u32 v6, v5, s63
	s_delay_alu instid0(VALU_DEP_1) | instskip(NEXT) | instid1(VALU_DEP_1)
	v_mul_lo_u32 v7, v6, s34
	v_sub_nc_u32_e32 v5, v5, v7
	v_add_nc_u32_e32 v7, 1, v6
	s_delay_alu instid0(VALU_DEP_2) | instskip(SKIP_2) | instid1(VALU_DEP_2)
	v_subrev_nc_u32_e32 v8, s34, v5
	v_cmp_le_u32_e32 vcc_lo, s34, v5
	s_wait_alu 0xfffd
	v_dual_cndmask_b32 v6, v6, v7 :: v_dual_cndmask_b32 v5, v5, v8
	v_ashrrev_i32_e32 v7, 31, v2
	s_delay_alu instid0(VALU_DEP_2) | instskip(NEXT) | instid1(VALU_DEP_3)
	v_add_nc_u32_e32 v8, 1, v6
	v_cmp_le_u32_e32 vcc_lo, s34, v5
	s_delay_alu instid0(VALU_DEP_3) | instskip(SKIP_1) | instid1(VALU_DEP_3)
	v_xor_b32_e32 v7, s3, v7
	s_wait_alu 0xfffd
	v_cndmask_b32_e32 v5, v6, v8, vcc_lo
	v_mul_lo_u32 v6, v3, s28
	v_mul_lo_u32 v8, v2, s10
	s_and_not1_b32 vcc_lo, exec_lo, s4
	s_delay_alu instid0(VALU_DEP_3) | instskip(NEXT) | instid1(VALU_DEP_3)
	v_xor_b32_e32 v5, v5, v7
	v_sub_nc_u32_e32 v10, v0, v6
	s_delay_alu instid0(VALU_DEP_2) | instskip(SKIP_2) | instid1(VALU_DEP_3)
	v_sub_nc_u32_e32 v13, v5, v7
	v_mul_lo_u32 v7, v4, s11
	v_sub_nc_u32_e32 v12, v4, v8
	v_mul_lo_u32 v5, v13, s9
	s_delay_alu instid0(VALU_DEP_3) | instskip(NEXT) | instid1(VALU_DEP_2)
	v_sub_nc_u32_e32 v11, v3, v7
	v_sub_nc_u32_e32 v2, v2, v5
	s_delay_alu instid0(VALU_DEP_1)
	v_ashrrev_i32_e32 v3, 31, v2
	s_wait_alu 0xfffe
	s_cbranch_vccnz .LBB1_14
; %bb.4:                                ;   in Loop: Header=BB1_3 Depth=1
	v_sub_nc_u32_e32 v4, 0, v2
	v_mul_lo_u32 v15, v11, s17
	v_mul_lo_u32 v9, v10, s18
	v_mul_lo_u32 v8, s15, v2
	s_mov_b32 s66, 0
	v_max_i32_e32 v4, v2, v4
	s_delay_alu instid0(VALU_DEP_4) | instskip(NEXT) | instid1(VALU_DEP_2)
	v_subrev_nc_u32_e32 v15, s38, v15
	v_mul_hi_u32 v5, v4, s65
	v_subrev_nc_u32_e32 v16, s39, v9
	v_ashrrev_i32_e32 v9, 31, v8
	s_delay_alu instid0(VALU_DEP_4) | instskip(SKIP_1) | instid1(VALU_DEP_3)
	v_mul_lo_u32 v21, s23, v15
	s_wait_kmcnt 0x0
	v_mul_lo_u32 v23, s53, v16
	s_delay_alu instid0(VALU_DEP_3) | instskip(SKIP_1) | instid1(VALU_DEP_4)
	v_lshlrev_b64_e32 v[8:9], 3, v[8:9]
	v_mul_lo_u32 v6, v5, s58
	v_ashrrev_i32_e32 v22, 31, v21
	s_delay_alu instid0(VALU_DEP_4) | instskip(NEXT) | instid1(VALU_DEP_3)
	v_ashrrev_i32_e32 v24, 31, v23
	v_sub_nc_u32_e32 v4, v4, v6
	v_add_nc_u32_e32 v6, 1, v5
	s_delay_alu instid0(VALU_DEP_2) | instskip(SKIP_2) | instid1(VALU_DEP_2)
	v_subrev_nc_u32_e32 v7, s58, v4
	v_cmp_le_u32_e32 vcc_lo, s58, v4
	s_wait_alu 0xfffd
	v_dual_cndmask_b32 v5, v5, v6 :: v_dual_cndmask_b32 v4, v4, v7
	v_xor_b32_e32 v7, s64, v3
	s_delay_alu instid0(VALU_DEP_2) | instskip(NEXT) | instid1(VALU_DEP_3)
	v_add_nc_u32_e32 v6, 1, v5
	v_cmp_le_u32_e32 vcc_lo, s58, v4
	s_wait_alu 0xfffd
	s_delay_alu instid0(VALU_DEP_2) | instskip(SKIP_2) | instid1(VALU_DEP_3)
	v_cndmask_b32_e32 v4, v5, v6, vcc_lo
	v_mul_lo_u32 v5, v12, s16
	v_mul_lo_u32 v6, s20, v13
	v_xor_b32_e32 v4, v4, v7
	s_delay_alu instid0(VALU_DEP_3) | instskip(NEXT) | instid1(VALU_DEP_2)
	v_subrev_nc_u32_e32 v14, s19, v5
	v_sub_nc_u32_e32 v4, v4, v7
	s_delay_alu instid0(VALU_DEP_4) | instskip(NEXT) | instid1(VALU_DEP_3)
	v_ashrrev_i32_e32 v7, 31, v6
	v_mul_lo_u32 v19, s22, v14
	s_delay_alu instid0(VALU_DEP_3) | instskip(NEXT) | instid1(VALU_DEP_3)
	v_mul_lo_u32 v17, s21, v4
	v_lshlrev_b64_e32 v[6:7], 3, v[6:7]
	v_mov_b32_e32 v4, 0
	v_mov_b32_e32 v5, 0
	v_ashrrev_i32_e32 v20, 31, v19
	v_ashrrev_i32_e32 v18, 31, v17
	v_add_co_u32 v25, vcc_lo, s40, v6
	s_wait_alu 0xfffd
	v_add_co_ci_u32_e64 v26, null, s41, v7, vcc_lo
	s_delay_alu instid0(VALU_DEP_3) | instskip(SKIP_1) | instid1(VALU_DEP_2)
	v_lshlrev_b64_e32 v[17:18], 3, v[17:18]
	v_lshlrev_b64_e32 v[6:7], 3, v[19:20]
	v_add_co_u32 v19, vcc_lo, v25, v17
	s_wait_alu 0xfffd
	s_delay_alu instid0(VALU_DEP_3) | instskip(SKIP_1) | instid1(VALU_DEP_3)
	v_add_co_ci_u32_e64 v20, null, v26, v18, vcc_lo
	v_lshlrev_b64_e32 v[17:18], 3, v[21:22]
	v_add_co_u32 v19, vcc_lo, v19, v6
	s_wait_alu 0xfffd
	s_delay_alu instid0(VALU_DEP_3) | instskip(SKIP_1) | instid1(VALU_DEP_3)
	v_add_co_ci_u32_e64 v20, null, v20, v7, vcc_lo
	v_lshlrev_b64_e32 v[6:7], 3, v[23:24]
	v_add_co_u32 v17, vcc_lo, v19, v17
	s_wait_alu 0xfffd
	s_delay_alu instid0(VALU_DEP_3) | instskip(NEXT) | instid1(VALU_DEP_2)
	v_add_co_ci_u32_e64 v18, null, v20, v18, vcc_lo
	v_add_co_u32 v6, vcc_lo, v17, v6
	s_wait_alu 0xfffd
	s_delay_alu instid0(VALU_DEP_2)
	v_add_co_ci_u32_e64 v7, null, v18, v7, vcc_lo
	v_add_co_u32 v8, vcc_lo, s44, v8
	s_wait_alu 0xfffd
	v_add_co_ci_u32_e64 v9, null, s45, v9, vcc_lo
	s_branch .LBB1_6
.LBB1_5:                                ;   in Loop: Header=BB1_6 Depth=2
	v_add_co_u32 v6, vcc_lo, v6, s48
	s_wait_alu 0xfffd
	v_add_co_ci_u32_e64 v7, null, s49, v7, vcc_lo
	s_add_co_i32 s66, s66, 1
	s_wait_alu 0xfffe
	s_cmp_eq_u32 s66, s12
	s_cbranch_scc1 .LBB1_15
.LBB1_6:                                ;   Parent Loop BB1_3 Depth=1
                                        ; =>  This Loop Header: Depth=2
                                        ;       Child Loop BB1_9 Depth 3
                                        ;         Child Loop BB1_12 Depth 4
	s_and_not1_b32 vcc_lo, exec_lo, s8
	s_wait_alu 0xfffe
	s_cbranch_vccnz .LBB1_5
; %bb.7:                                ;   in Loop: Header=BB1_6 Depth=2
	v_add_nc_u32_e32 v17, s66, v14
	s_mov_b32 s67, 0
	s_delay_alu instid0(VALU_DEP_1)
	v_cmp_lt_i32_e64 s0, -1, v17
	v_cmp_gt_i32_e64 s1, s5, v17
	s_branch .LBB1_9
.LBB1_8:                                ;   in Loop: Header=BB1_9 Depth=3
	v_add_co_u32 v6, vcc_lo, v6, s46
	s_wait_alu 0xfffd
	v_add_co_ci_u32_e64 v7, null, s47, v7, vcc_lo
	s_add_co_i32 s67, s67, 1
	s_wait_alu 0xfffe
	s_cmp_eq_u32 s67, s13
	s_cbranch_scc1 .LBB1_5
.LBB1_9:                                ;   Parent Loop BB1_3 Depth=1
                                        ;     Parent Loop BB1_6 Depth=2
                                        ; =>    This Loop Header: Depth=3
                                        ;         Child Loop BB1_12 Depth 4
	s_and_not1_b32 vcc_lo, exec_lo, s33
	s_wait_alu 0xfffe
	s_cbranch_vccnz .LBB1_8
; %bb.10:                               ;   in Loop: Header=BB1_9 Depth=3
	v_dual_mov_b32 v17, v16 :: v_dual_add_nc_u32 v18, s67, v15
	s_mov_b32 s69, s14
	s_delay_alu instid0(VALU_DEP_1)
	v_cmp_lt_i32_e64 s2, -1, v18
	v_cmp_gt_i32_e32 vcc_lo, s6, v18
	s_and_b32 s68, s0, s2
	s_branch .LBB1_12
.LBB1_11:                               ;   in Loop: Header=BB1_12 Depth=4
	s_wait_alu 0xfffe
	s_or_b32 exec_lo, exec_lo, s2
	v_add_co_u32 v8, s2, v8, 8
	s_wait_alu 0xf1ff
	v_add_co_ci_u32_e64 v9, null, 0, v9, s2
	v_add_co_u32 v6, s2, v6, 8
	s_wait_alu 0xf1ff
	v_add_co_ci_u32_e64 v7, null, 0, v7, s2
	v_add_nc_u32_e32 v17, 1, v17
	s_add_co_i32 s69, s69, -1
	s_delay_alu instid0(SALU_CYCLE_1)
	s_cmp_eq_u32 s69, 0
	s_cbranch_scc1 .LBB1_8
.LBB1_12:                               ;   Parent Loop BB1_3 Depth=1
                                        ;     Parent Loop BB1_6 Depth=2
                                        ;       Parent Loop BB1_9 Depth=3
                                        ; =>      This Inner Loop Header: Depth=4
	s_delay_alu instid0(VALU_DEP_1) | instskip(SKIP_3) | instid1(SALU_CYCLE_1)
	v_cmp_lt_i32_e64 s2, -1, v17
	s_and_b32 s70, s68, s2
	v_cmp_gt_i32_e64 s2, s7, v17
	s_and_b32 s70, s70, s1
	s_and_b32 s70, s70, vcc_lo
	s_delay_alu instid0(SALU_CYCLE_1) | instskip(NEXT) | instid1(SALU_CYCLE_1)
	s_and_b32 s70, s70, s2
	s_and_saveexec_b32 s2, s70
	s_cbranch_execz .LBB1_11
; %bb.13:                               ;   in Loop: Header=BB1_12 Depth=4
	global_load_b64 v[18:19], v[8:9], off
	global_load_b64 v[20:21], v[6:7], off
	s_wait_loadcnt 0x0
	v_fma_f64 v[4:5], v[18:19], v[20:21], v[4:5]
	s_branch .LBB1_11
.LBB1_14:                               ;   in Loop: Header=BB1_3 Depth=1
	v_mov_b32_e32 v4, 0
	v_mov_b32_e32 v5, 0
.LBB1_15:                               ;   in Loop: Header=BB1_3 Depth=1
	s_and_b32 vcc_lo, exec_lo, s50
	s_wait_alu 0xfffe
	s_cbranch_vccz .LBB1_2
; %bb.16:                               ;   in Loop: Header=BB1_3 Depth=1
	v_lshlrev_b64_e32 v[6:7], 3, v[2:3]
	s_delay_alu instid0(VALU_DEP_1) | instskip(SKIP_1) | instid1(VALU_DEP_2)
	v_add_co_u32 v6, vcc_lo, s36, v6
	s_wait_alu 0xfffd
	v_add_co_ci_u32_e64 v7, null, s37, v7, vcc_lo
	global_load_b64 v[6:7], v[6:7], off
	s_wait_loadcnt 0x0
	v_add_f64_e32 v[4:5], v[4:5], v[6:7]
	s_branch .LBB1_2
.LBB1_17:
	s_endpgm
	.section	.rodata,"a",@progbits
	.p2align	6, 0x0
	.amdhsa_kernel _ZN2at6native12_GLOBAL__N_128conv_depthwise3d_cuda_kernelIddLin1ELin1ELin1ELi1ELi1ELi1EEEvN5torch10headeronly6detail27GenericPackedTensorAccessorINS5_14TensorAccessorIN3c108ArrayRefIlEEKT_Lm4ENS4_16DefaultPtrTraitsEiEENS_6detail16IndexBoundsCheckILm5EiEESC_Lm5ESD_iEENS6_INS7_ISA_SB_Lm4ESD_iEESH_SB_Lm5ESD_iEESI_PSC_iiiiiiiii
		.amdhsa_group_segment_fixed_size 0
		.amdhsa_private_segment_fixed_size 0
		.amdhsa_kernarg_size 448
		.amdhsa_user_sgpr_count 2
		.amdhsa_user_sgpr_dispatch_ptr 0
		.amdhsa_user_sgpr_queue_ptr 0
		.amdhsa_user_sgpr_kernarg_segment_ptr 1
		.amdhsa_user_sgpr_dispatch_id 0
		.amdhsa_user_sgpr_private_segment_size 0
		.amdhsa_wavefront_size32 1
		.amdhsa_uses_dynamic_stack 0
		.amdhsa_enable_private_segment 0
		.amdhsa_system_sgpr_workgroup_id_x 1
		.amdhsa_system_sgpr_workgroup_id_y 0
		.amdhsa_system_sgpr_workgroup_id_z 0
		.amdhsa_system_sgpr_workgroup_info 0
		.amdhsa_system_vgpr_workitem_id 0
		.amdhsa_next_free_vgpr 27
		.amdhsa_next_free_sgpr 71
		.amdhsa_reserve_vcc 1
		.amdhsa_float_round_mode_32 0
		.amdhsa_float_round_mode_16_64 0
		.amdhsa_float_denorm_mode_32 3
		.amdhsa_float_denorm_mode_16_64 3
		.amdhsa_fp16_overflow 0
		.amdhsa_workgroup_processor_mode 1
		.amdhsa_memory_ordered 1
		.amdhsa_forward_progress 1
		.amdhsa_inst_pref_size 18
		.amdhsa_round_robin_scheduling 0
		.amdhsa_exception_fp_ieee_invalid_op 0
		.amdhsa_exception_fp_denorm_src 0
		.amdhsa_exception_fp_ieee_div_zero 0
		.amdhsa_exception_fp_ieee_overflow 0
		.amdhsa_exception_fp_ieee_underflow 0
		.amdhsa_exception_fp_ieee_inexact 0
		.amdhsa_exception_int_div_zero 0
	.end_amdhsa_kernel
	.section	.text._ZN2at6native12_GLOBAL__N_128conv_depthwise3d_cuda_kernelIddLin1ELin1ELin1ELi1ELi1ELi1EEEvN5torch10headeronly6detail27GenericPackedTensorAccessorINS5_14TensorAccessorIN3c108ArrayRefIlEEKT_Lm4ENS4_16DefaultPtrTraitsEiEENS_6detail16IndexBoundsCheckILm5EiEESC_Lm5ESD_iEENS6_INS7_ISA_SB_Lm4ESD_iEESH_SB_Lm5ESD_iEESI_PSC_iiiiiiiii,"axG",@progbits,_ZN2at6native12_GLOBAL__N_128conv_depthwise3d_cuda_kernelIddLin1ELin1ELin1ELi1ELi1ELi1EEEvN5torch10headeronly6detail27GenericPackedTensorAccessorINS5_14TensorAccessorIN3c108ArrayRefIlEEKT_Lm4ENS4_16DefaultPtrTraitsEiEENS_6detail16IndexBoundsCheckILm5EiEESC_Lm5ESD_iEENS6_INS7_ISA_SB_Lm4ESD_iEESH_SB_Lm5ESD_iEESI_PSC_iiiiiiiii,comdat
.Lfunc_end1:
	.size	_ZN2at6native12_GLOBAL__N_128conv_depthwise3d_cuda_kernelIddLin1ELin1ELin1ELi1ELi1ELi1EEEvN5torch10headeronly6detail27GenericPackedTensorAccessorINS5_14TensorAccessorIN3c108ArrayRefIlEEKT_Lm4ENS4_16DefaultPtrTraitsEiEENS_6detail16IndexBoundsCheckILm5EiEESC_Lm5ESD_iEENS6_INS7_ISA_SB_Lm4ESD_iEESH_SB_Lm5ESD_iEESI_PSC_iiiiiiiii, .Lfunc_end1-_ZN2at6native12_GLOBAL__N_128conv_depthwise3d_cuda_kernelIddLin1ELin1ELin1ELi1ELi1ELi1EEEvN5torch10headeronly6detail27GenericPackedTensorAccessorINS5_14TensorAccessorIN3c108ArrayRefIlEEKT_Lm4ENS4_16DefaultPtrTraitsEiEENS_6detail16IndexBoundsCheckILm5EiEESC_Lm5ESD_iEENS6_INS7_ISA_SB_Lm4ESD_iEESH_SB_Lm5ESD_iEESI_PSC_iiiiiiiii
                                        ; -- End function
	.set _ZN2at6native12_GLOBAL__N_128conv_depthwise3d_cuda_kernelIddLin1ELin1ELin1ELi1ELi1ELi1EEEvN5torch10headeronly6detail27GenericPackedTensorAccessorINS5_14TensorAccessorIN3c108ArrayRefIlEEKT_Lm4ENS4_16DefaultPtrTraitsEiEENS_6detail16IndexBoundsCheckILm5EiEESC_Lm5ESD_iEENS6_INS7_ISA_SB_Lm4ESD_iEESH_SB_Lm5ESD_iEESI_PSC_iiiiiiiii.num_vgpr, 27
	.set _ZN2at6native12_GLOBAL__N_128conv_depthwise3d_cuda_kernelIddLin1ELin1ELin1ELi1ELi1ELi1EEEvN5torch10headeronly6detail27GenericPackedTensorAccessorINS5_14TensorAccessorIN3c108ArrayRefIlEEKT_Lm4ENS4_16DefaultPtrTraitsEiEENS_6detail16IndexBoundsCheckILm5EiEESC_Lm5ESD_iEENS6_INS7_ISA_SB_Lm4ESD_iEESH_SB_Lm5ESD_iEESI_PSC_iiiiiiiii.num_agpr, 0
	.set _ZN2at6native12_GLOBAL__N_128conv_depthwise3d_cuda_kernelIddLin1ELin1ELin1ELi1ELi1ELi1EEEvN5torch10headeronly6detail27GenericPackedTensorAccessorINS5_14TensorAccessorIN3c108ArrayRefIlEEKT_Lm4ENS4_16DefaultPtrTraitsEiEENS_6detail16IndexBoundsCheckILm5EiEESC_Lm5ESD_iEENS6_INS7_ISA_SB_Lm4ESD_iEESH_SB_Lm5ESD_iEESI_PSC_iiiiiiiii.numbered_sgpr, 71
	.set _ZN2at6native12_GLOBAL__N_128conv_depthwise3d_cuda_kernelIddLin1ELin1ELin1ELi1ELi1ELi1EEEvN5torch10headeronly6detail27GenericPackedTensorAccessorINS5_14TensorAccessorIN3c108ArrayRefIlEEKT_Lm4ENS4_16DefaultPtrTraitsEiEENS_6detail16IndexBoundsCheckILm5EiEESC_Lm5ESD_iEENS6_INS7_ISA_SB_Lm4ESD_iEESH_SB_Lm5ESD_iEESI_PSC_iiiiiiiii.num_named_barrier, 0
	.set _ZN2at6native12_GLOBAL__N_128conv_depthwise3d_cuda_kernelIddLin1ELin1ELin1ELi1ELi1ELi1EEEvN5torch10headeronly6detail27GenericPackedTensorAccessorINS5_14TensorAccessorIN3c108ArrayRefIlEEKT_Lm4ENS4_16DefaultPtrTraitsEiEENS_6detail16IndexBoundsCheckILm5EiEESC_Lm5ESD_iEENS6_INS7_ISA_SB_Lm4ESD_iEESH_SB_Lm5ESD_iEESI_PSC_iiiiiiiii.private_seg_size, 0
	.set _ZN2at6native12_GLOBAL__N_128conv_depthwise3d_cuda_kernelIddLin1ELin1ELin1ELi1ELi1ELi1EEEvN5torch10headeronly6detail27GenericPackedTensorAccessorINS5_14TensorAccessorIN3c108ArrayRefIlEEKT_Lm4ENS4_16DefaultPtrTraitsEiEENS_6detail16IndexBoundsCheckILm5EiEESC_Lm5ESD_iEENS6_INS7_ISA_SB_Lm4ESD_iEESH_SB_Lm5ESD_iEESI_PSC_iiiiiiiii.uses_vcc, 1
	.set _ZN2at6native12_GLOBAL__N_128conv_depthwise3d_cuda_kernelIddLin1ELin1ELin1ELi1ELi1ELi1EEEvN5torch10headeronly6detail27GenericPackedTensorAccessorINS5_14TensorAccessorIN3c108ArrayRefIlEEKT_Lm4ENS4_16DefaultPtrTraitsEiEENS_6detail16IndexBoundsCheckILm5EiEESC_Lm5ESD_iEENS6_INS7_ISA_SB_Lm4ESD_iEESH_SB_Lm5ESD_iEESI_PSC_iiiiiiiii.uses_flat_scratch, 0
	.set _ZN2at6native12_GLOBAL__N_128conv_depthwise3d_cuda_kernelIddLin1ELin1ELin1ELi1ELi1ELi1EEEvN5torch10headeronly6detail27GenericPackedTensorAccessorINS5_14TensorAccessorIN3c108ArrayRefIlEEKT_Lm4ENS4_16DefaultPtrTraitsEiEENS_6detail16IndexBoundsCheckILm5EiEESC_Lm5ESD_iEENS6_INS7_ISA_SB_Lm4ESD_iEESH_SB_Lm5ESD_iEESI_PSC_iiiiiiiii.has_dyn_sized_stack, 0
	.set _ZN2at6native12_GLOBAL__N_128conv_depthwise3d_cuda_kernelIddLin1ELin1ELin1ELi1ELi1ELi1EEEvN5torch10headeronly6detail27GenericPackedTensorAccessorINS5_14TensorAccessorIN3c108ArrayRefIlEEKT_Lm4ENS4_16DefaultPtrTraitsEiEENS_6detail16IndexBoundsCheckILm5EiEESC_Lm5ESD_iEENS6_INS7_ISA_SB_Lm4ESD_iEESH_SB_Lm5ESD_iEESI_PSC_iiiiiiiii.has_recursion, 0
	.set _ZN2at6native12_GLOBAL__N_128conv_depthwise3d_cuda_kernelIddLin1ELin1ELin1ELi1ELi1ELi1EEEvN5torch10headeronly6detail27GenericPackedTensorAccessorINS5_14TensorAccessorIN3c108ArrayRefIlEEKT_Lm4ENS4_16DefaultPtrTraitsEiEENS_6detail16IndexBoundsCheckILm5EiEESC_Lm5ESD_iEENS6_INS7_ISA_SB_Lm4ESD_iEESH_SB_Lm5ESD_iEESI_PSC_iiiiiiiii.has_indirect_call, 0
	.section	.AMDGPU.csdata,"",@progbits
; Kernel info:
; codeLenInByte = 2260
; TotalNumSgprs: 73
; NumVgprs: 27
; ScratchSize: 0
; MemoryBound: 1
; FloatMode: 240
; IeeeMode: 1
; LDSByteSize: 0 bytes/workgroup (compile time only)
; SGPRBlocks: 0
; VGPRBlocks: 3
; NumSGPRsForWavesPerEU: 73
; NumVGPRsForWavesPerEU: 27
; Occupancy: 16
; WaveLimiterHint : 0
; COMPUTE_PGM_RSRC2:SCRATCH_EN: 0
; COMPUTE_PGM_RSRC2:USER_SGPR: 2
; COMPUTE_PGM_RSRC2:TRAP_HANDLER: 0
; COMPUTE_PGM_RSRC2:TGID_X_EN: 1
; COMPUTE_PGM_RSRC2:TGID_Y_EN: 0
; COMPUTE_PGM_RSRC2:TGID_Z_EN: 0
; COMPUTE_PGM_RSRC2:TIDIG_COMP_CNT: 0
	.section	.text._ZN2at6native12_GLOBAL__N_128conv_depthwise3d_cuda_kernelIddLin1ELin1ELin1ELin1ELin1ELin1EEEvN5torch10headeronly6detail27GenericPackedTensorAccessorINS5_14TensorAccessorIN3c108ArrayRefIlEEKT_Lm4ENS4_16DefaultPtrTraitsEiEENS_6detail16IndexBoundsCheckILm5EiEESC_Lm5ESD_iEENS6_INS7_ISA_SB_Lm4ESD_iEESH_SB_Lm5ESD_iEESI_PSC_iiiiiiiii,"axG",@progbits,_ZN2at6native12_GLOBAL__N_128conv_depthwise3d_cuda_kernelIddLin1ELin1ELin1ELin1ELin1ELin1EEEvN5torch10headeronly6detail27GenericPackedTensorAccessorINS5_14TensorAccessorIN3c108ArrayRefIlEEKT_Lm4ENS4_16DefaultPtrTraitsEiEENS_6detail16IndexBoundsCheckILm5EiEESC_Lm5ESD_iEENS6_INS7_ISA_SB_Lm4ESD_iEESH_SB_Lm5ESD_iEESI_PSC_iiiiiiiii,comdat
	.globl	_ZN2at6native12_GLOBAL__N_128conv_depthwise3d_cuda_kernelIddLin1ELin1ELin1ELin1ELin1ELin1EEEvN5torch10headeronly6detail27GenericPackedTensorAccessorINS5_14TensorAccessorIN3c108ArrayRefIlEEKT_Lm4ENS4_16DefaultPtrTraitsEiEENS_6detail16IndexBoundsCheckILm5EiEESC_Lm5ESD_iEENS6_INS7_ISA_SB_Lm4ESD_iEESH_SB_Lm5ESD_iEESI_PSC_iiiiiiiii ; -- Begin function _ZN2at6native12_GLOBAL__N_128conv_depthwise3d_cuda_kernelIddLin1ELin1ELin1ELin1ELin1ELin1EEEvN5torch10headeronly6detail27GenericPackedTensorAccessorINS5_14TensorAccessorIN3c108ArrayRefIlEEKT_Lm4ENS4_16DefaultPtrTraitsEiEENS_6detail16IndexBoundsCheckILm5EiEESC_Lm5ESD_iEENS6_INS7_ISA_SB_Lm4ESD_iEESH_SB_Lm5ESD_iEESI_PSC_iiiiiiiii
	.p2align	8
	.type	_ZN2at6native12_GLOBAL__N_128conv_depthwise3d_cuda_kernelIddLin1ELin1ELin1ELin1ELin1ELin1EEEvN5torch10headeronly6detail27GenericPackedTensorAccessorINS5_14TensorAccessorIN3c108ArrayRefIlEEKT_Lm4ENS4_16DefaultPtrTraitsEiEENS_6detail16IndexBoundsCheckILm5EiEESC_Lm5ESD_iEENS6_INS7_ISA_SB_Lm4ESD_iEESH_SB_Lm5ESD_iEESI_PSC_iiiiiiiii,@function
_ZN2at6native12_GLOBAL__N_128conv_depthwise3d_cuda_kernelIddLin1ELin1ELin1ELin1ELin1ELin1EEEvN5torch10headeronly6detail27GenericPackedTensorAccessorINS5_14TensorAccessorIN3c108ArrayRefIlEEKT_Lm4ENS4_16DefaultPtrTraitsEiEENS_6detail16IndexBoundsCheckILm5EiEESC_Lm5ESD_iEENS6_INS7_ISA_SB_Lm4ESD_iEESH_SB_Lm5ESD_iEESI_PSC_iiiiiiiii: ; @_ZN2at6native12_GLOBAL__N_128conv_depthwise3d_cuda_kernelIddLin1ELin1ELin1ELin1ELin1ELin1EEEvN5torch10headeronly6detail27GenericPackedTensorAccessorINS5_14TensorAccessorIN3c108ArrayRefIlEEKT_Lm4ENS4_16DefaultPtrTraitsEiEENS_6detail16IndexBoundsCheckILm5EiEESC_Lm5ESD_iEENS6_INS7_ISA_SB_Lm4ESD_iEESH_SB_Lm5ESD_iEESI_PSC_iiiiiiiii
; %bb.0:
	s_clause 0x3
	s_load_b128 s[12:15], s[0:1], 0xc
	s_load_b32 s3, s[0:1], 0xcc
	s_load_b64 s[34:35], s[0:1], 0x48
	s_load_b128 s[16:19], s[0:1], 0x38
	v_mov_b32_e32 v1, 0
	s_wait_kmcnt 0x0
	s_abs_i32 s2, s12
	s_and_b32 s50, s3, 0xffff
	s_cvt_f32_u32 s4, s2
	v_mad_co_u64_u32 v[0:1], null, s50, ttmp9, v[0:1]
	s_mul_i32 s36, s35, s16
	s_delay_alu instid0(SALU_CYCLE_1) | instskip(SKIP_2) | instid1(TRANS32_DEP_1)
	v_rcp_iflag_f32_e32 v2, s4
	s_ashr_i32 s37, s36, 31
	s_mov_b32 s4, exec_lo
	v_readfirstlane_b32 s3, v2
	v_cmpx_gt_i64_e64 s[36:37], v[0:1]
	s_cbranch_execz .LBB2_17
; %bb.1:
	s_mul_f32 s3, s3, 0x4f7ffffe
	s_sub_co_i32 s4, 0, s2
	s_mov_b32 s39, 0
	s_abs_i32 s38, s17
	s_cvt_u32_f32 s3, s3
	s_mov_b32 s21, s39
	s_ashr_i32 s16, s17, 31
	s_load_b64 s[42:43], s[0:1], 0x90
	s_mul_i32 s4, s4, s3
	s_cvt_f32_u32 s53, s38
	s_wait_alu 0xfffe
	s_mul_hi_u32 s4, s3, s4
	s_wait_alu 0xfffe
	s_add_co_i32 s20, s3, s4
	s_ashr_i32 s3, s12, 31
	s_mul_u64 s[24:25], s[38:39], s[20:21]
	s_clause 0x1
	s_load_b128 s[20:23], s[0:1], 0x70
	s_load_b32 s40, s[0:1], 0xb8
	s_mul_i32 s12, s25, s2
	s_load_b256 s[4:11], s[0:1], 0x98
	s_xor_b32 s24, s16, s3
	s_sub_co_i32 s3, s38, s12
	s_add_co_i32 s12, s25, 1
	s_sub_co_i32 s26, s3, s2
	s_cmp_ge_u32 s3, s2
	v_rcp_iflag_f32_e32 v4, s53
	s_cselect_b32 s12, s12, s25
	s_cselect_b32 s3, s26, s3
	s_add_co_i32 s25, s12, 1
	s_cmp_ge_u32 s3, s2
	s_add_nc_u64 s[2:3], s[0:1], 0xc0
	s_cselect_b32 s12, s25, s12
	s_load_b32 s51, s[2:3], 0x0
	s_xor_b32 s2, s12, s24
	s_delay_alu instid0(SALU_CYCLE_1)
	s_sub_co_i32 s52, s2, s24
	s_wait_kmcnt 0x0
	s_cmp_gt_i32 s20, 0
	s_mul_i32 s2, s22, s40
	s_cselect_b32 s12, -1, 0
	s_cmp_gt_i32 s21, 0
	s_mul_i32 s24, s14, s10
	s_cselect_b32 s33, -1, 0
	s_cmp_gt_i32 s22, 0
	s_mul_i32 s25, s21, s11
	s_mul_i32 s3, s15, s11
	s_cselect_b32 s56, -1, 0
	s_sub_co_i32 s24, s24, s25
	s_sub_co_i32 s2, s3, s2
	s_mul_i32 s54, s24, s15
	s_ashr_i32 s41, s40, 31
	s_ashr_i32 s3, s2, 31
	;; [unrolled: 1-line block ×3, first 2 shown]
	s_cmp_lg_u64 s[42:43], 0
	s_clause 0x1
	s_load_b64 s[44:45], s[0:1], 0x0
	s_load_b128 s[24:27], s[0:1], 0x1c
	s_cselect_b32 s57, -1, 0
	s_abs_i32 s58, s34
	s_abs_i32 s59, s19
	s_cvt_f32_u32 s28, s58
	s_cvt_f32_u32 s29, s59
	s_abs_i32 s61, s18
	s_clause 0x1
	s_load_b32 s60, s[0:1], 0x2c
	s_load_b64 s[46:47], s[0:1], 0x30
	v_rcp_iflag_f32_e32 v2, s28
	v_rcp_iflag_f32_e32 v3, s29
	s_clause 0x1
	s_load_b64 s[48:49], s[0:1], 0x60
	s_load_b128 s[28:31], s[0:1], 0x50
	s_cvt_f32_u32 s0, s61
	s_abs_i32 s64, s52
	s_mul_i32 s62, s51, s50
	s_cvt_f32_u32 s53, s64
	s_sub_co_i32 s50, 0, s58
	s_sub_co_i32 s51, 0, s59
	s_ashr_i32 s63, s34, 31
	v_readfirstlane_b32 s1, v2
	s_wait_alu 0xfffe
	v_rcp_iflag_f32_e32 v2, s0
	v_readfirstlane_b32 s0, v3
	s_ashr_i32 s68, s18, 31
	s_ashr_i32 s71, s52, 31
	s_mul_f32 s1, s1, 0x4f7ffffe
	s_lshl_b64 s[54:55], s[54:55], 3
	s_mul_f32 s0, s0, 0x4f7ffffe
	s_wait_alu 0xfffe
	s_cvt_u32_f32 s1, s1
	s_delay_alu instid0(TRANS32_DEP_1)
	v_readfirstlane_b32 s66, v2
	v_rcp_iflag_f32_e32 v2, s53
	s_cvt_u32_f32 s0, s0
	s_wait_alu 0xfffe
	s_mul_i32 s50, s50, s1
	s_lshl_b64 s[52:53], s[2:3], 3
	s_wait_alu 0xfffe
	s_mul_hi_u32 s50, s1, s50
	s_mul_i32 s51, s51, s0
	s_wait_alu 0xfffe
	s_add_co_i32 s65, s1, s50
	s_mul_f32 s1, s66, 0x4f7ffffe
	s_mul_hi_u32 s50, s0, s51
	v_readfirstlane_b32 s51, v4
	s_wait_alu 0xfffe
	s_add_co_i32 s67, s0, s50
	v_readfirstlane_b32 s50, v2
	s_cvt_u32_f32 s1, s1
	s_sub_co_i32 s0, 0, s61
	s_mul_f32 s51, s51, 0x4f7ffffe
	s_ashr_i32 s66, s19, 31
	s_wait_alu 0xfffe
	s_mul_i32 s0, s0, s1
	s_mul_f32 s50, s50, 0x4f7ffffe
	s_wait_alu 0xfffe
	s_mul_hi_u32 s0, s1, s0
	s_cvt_u32_f32 s51, s51
	s_wait_alu 0xfffe
	s_add_co_i32 s69, s1, s0
	s_sub_co_i32 s0, 0, s38
	s_cvt_u32_f32 s1, s50
	s_wait_alu 0xfffe
	s_mul_i32 s0, s0, s51
	s_sub_co_i32 s50, 0, s64
	s_wait_alu 0xfffe
	s_mul_hi_u32 s0, s51, s0
	s_mul_i32 s50, s50, s1
	s_wait_alu 0xfffe
	s_add_co_i32 s70, s51, s0
	s_mul_hi_u32 s0, s1, s50
	s_lshl_b64 s[50:51], s[40:41], 3
	s_wait_alu 0xfffe
	s_add_co_i32 s72, s1, s0
	s_branch .LBB2_3
.LBB2_2:                                ;   in Loop: Header=BB2_3 Depth=1
	v_mul_lo_u32 v6, v15, s35
	s_wait_kmcnt 0x0
	v_mul_lo_u32 v2, s28, v2
	v_mul_lo_u32 v8, s29, v14
	;; [unrolled: 1-line block ×3, first 2 shown]
	v_add_co_u32 v0, vcc_lo, v0, s62
	s_wait_alu 0xfffd
	v_add_co_ci_u32_e64 v1, null, 0, v1, vcc_lo
	v_ashrrev_i32_e32 v7, 31, v6
	v_ashrrev_i32_e32 v3, 31, v2
	;; [unrolled: 1-line block ×3, first 2 shown]
	v_mul_lo_u32 v12, s31, v12
	v_ashrrev_i32_e32 v11, 31, v10
	v_lshlrev_b64_e32 v[6:7], 3, v[6:7]
	v_lshlrev_b64_e32 v[2:3], 3, v[2:3]
	s_delay_alu instid0(VALU_DEP_4) | instskip(NEXT) | instid1(VALU_DEP_3)
	v_ashrrev_i32_e32 v13, 31, v12
	v_add_co_u32 v14, vcc_lo, s46, v6
	s_wait_alu 0xfffd
	s_delay_alu instid0(VALU_DEP_4) | instskip(SKIP_1) | instid1(VALU_DEP_3)
	v_add_co_ci_u32_e64 v15, null, s47, v7, vcc_lo
	v_lshlrev_b64_e32 v[6:7], 3, v[8:9]
	v_add_co_u32 v8, vcc_lo, v14, v2
	s_wait_alu 0xfffd
	s_delay_alu instid0(VALU_DEP_3) | instskip(SKIP_1) | instid1(VALU_DEP_3)
	v_add_co_ci_u32_e64 v9, null, v15, v3, vcc_lo
	v_lshlrev_b64_e32 v[2:3], 3, v[10:11]
	v_add_co_u32 v8, vcc_lo, v8, v6
	s_wait_alu 0xfffd
	s_delay_alu instid0(VALU_DEP_3) | instskip(SKIP_1) | instid1(VALU_DEP_3)
	;; [unrolled: 5-line block ×3, first 2 shown]
	v_add_co_ci_u32_e64 v3, null, v9, v3, vcc_lo
	v_cmp_le_i64_e32 vcc_lo, s[36:37], v[0:1]
	v_add_co_u32 v2, s0, v2, v6
	s_wait_alu 0xf1ff
	s_delay_alu instid0(VALU_DEP_3)
	v_add_co_ci_u32_e64 v3, null, v3, v7, s0
	s_or_b32 s39, vcc_lo, s39
	global_store_b64 v[2:3], v[4:5], off
	s_wait_alu 0xfffe
	s_and_not1_b32 exec_lo, exec_lo, s39
	s_cbranch_execz .LBB2_17
.LBB2_3:                                ; =>This Loop Header: Depth=1
                                        ;     Child Loop BB2_6 Depth 2
                                        ;       Child Loop BB2_9 Depth 3
                                        ;         Child Loop BB2_12 Depth 4
	v_sub_nc_u32_e32 v2, 0, v0
	s_delay_alu instid0(VALU_DEP_1) | instskip(NEXT) | instid1(VALU_DEP_1)
	v_max_i32_e32 v2, v0, v2
	v_mul_hi_u32 v3, v2, s65
	s_delay_alu instid0(VALU_DEP_1) | instskip(NEXT) | instid1(VALU_DEP_1)
	v_mul_lo_u32 v4, v3, s58
	v_sub_nc_u32_e32 v2, v2, v4
	v_add_nc_u32_e32 v4, 1, v3
	s_delay_alu instid0(VALU_DEP_2) | instskip(SKIP_2) | instid1(VALU_DEP_2)
	v_subrev_nc_u32_e32 v5, s58, v2
	v_cmp_le_u32_e32 vcc_lo, s58, v2
	s_wait_alu 0xfffd
	v_dual_cndmask_b32 v3, v3, v4 :: v_dual_cndmask_b32 v2, v2, v5
	v_ashrrev_i32_e32 v4, 31, v0
	s_delay_alu instid0(VALU_DEP_2) | instskip(NEXT) | instid1(VALU_DEP_3)
	v_add_nc_u32_e32 v5, 1, v3
	v_cmp_le_u32_e32 vcc_lo, s58, v2
	s_delay_alu instid0(VALU_DEP_3) | instskip(SKIP_1) | instid1(VALU_DEP_3)
	v_xor_b32_e32 v4, s63, v4
	s_wait_alu 0xfffd
	v_cndmask_b32_e32 v2, v3, v5, vcc_lo
	s_delay_alu instid0(VALU_DEP_1) | instskip(NEXT) | instid1(VALU_DEP_1)
	v_xor_b32_e32 v2, v2, v4
	v_sub_nc_u32_e32 v3, v2, v4
	s_delay_alu instid0(VALU_DEP_1) | instskip(NEXT) | instid1(VALU_DEP_1)
	v_sub_nc_u32_e32 v2, 0, v3
	v_max_i32_e32 v2, v3, v2
	s_delay_alu instid0(VALU_DEP_1) | instskip(NEXT) | instid1(VALU_DEP_1)
	v_mul_hi_u32 v4, v2, s67
	v_mul_lo_u32 v5, v4, s59
	s_delay_alu instid0(VALU_DEP_1) | instskip(SKIP_1) | instid1(VALU_DEP_2)
	v_sub_nc_u32_e32 v2, v2, v5
	v_add_nc_u32_e32 v5, 1, v4
	v_subrev_nc_u32_e32 v6, s59, v2
	v_cmp_le_u32_e32 vcc_lo, s59, v2
	s_wait_alu 0xfffd
	s_delay_alu instid0(VALU_DEP_3) | instskip(NEXT) | instid1(VALU_DEP_3)
	v_cndmask_b32_e32 v4, v4, v5, vcc_lo
	v_cndmask_b32_e32 v2, v2, v6, vcc_lo
	v_ashrrev_i32_e32 v5, 31, v3
	s_delay_alu instid0(VALU_DEP_3) | instskip(NEXT) | instid1(VALU_DEP_3)
	v_add_nc_u32_e32 v6, 1, v4
	v_cmp_le_u32_e32 vcc_lo, s59, v2
	s_delay_alu instid0(VALU_DEP_3) | instskip(SKIP_1) | instid1(VALU_DEP_3)
	v_xor_b32_e32 v5, s66, v5
	s_wait_alu 0xfffd
	v_cndmask_b32_e32 v2, v4, v6, vcc_lo
	s_delay_alu instid0(VALU_DEP_1) | instskip(NEXT) | instid1(VALU_DEP_1)
	v_xor_b32_e32 v2, v2, v5
	v_sub_nc_u32_e32 v4, v2, v5
	s_delay_alu instid0(VALU_DEP_1) | instskip(NEXT) | instid1(VALU_DEP_1)
	v_sub_nc_u32_e32 v2, 0, v4
	v_max_i32_e32 v2, v4, v2
	s_delay_alu instid0(VALU_DEP_1) | instskip(NEXT) | instid1(VALU_DEP_1)
	v_mul_hi_u32 v5, v2, s69
	v_mul_lo_u32 v6, v5, s61
	s_delay_alu instid0(VALU_DEP_1) | instskip(SKIP_1) | instid1(VALU_DEP_2)
	v_sub_nc_u32_e32 v2, v2, v6
	v_add_nc_u32_e32 v6, 1, v5
	v_subrev_nc_u32_e32 v7, s61, v2
	v_cmp_le_u32_e32 vcc_lo, s61, v2
	s_wait_alu 0xfffd
	s_delay_alu instid0(VALU_DEP_2) | instskip(SKIP_1) | instid1(VALU_DEP_2)
	v_dual_cndmask_b32 v5, v5, v6 :: v_dual_cndmask_b32 v2, v2, v7
	v_ashrrev_i32_e32 v6, 31, v4
	v_add_nc_u32_e32 v7, 1, v5
	s_delay_alu instid0(VALU_DEP_3) | instskip(NEXT) | instid1(VALU_DEP_3)
	v_cmp_le_u32_e32 vcc_lo, s61, v2
	v_xor_b32_e32 v6, s68, v6
	s_wait_alu 0xfffd
	s_delay_alu instid0(VALU_DEP_3) | instskip(NEXT) | instid1(VALU_DEP_1)
	v_cndmask_b32_e32 v2, v5, v7, vcc_lo
	v_xor_b32_e32 v2, v2, v6
	s_delay_alu instid0(VALU_DEP_1) | instskip(NEXT) | instid1(VALU_DEP_1)
	v_sub_nc_u32_e32 v2, v2, v6
	v_sub_nc_u32_e32 v5, 0, v2
	s_delay_alu instid0(VALU_DEP_1) | instskip(NEXT) | instid1(VALU_DEP_1)
	v_max_i32_e32 v5, v2, v5
	v_mul_hi_u32 v6, v5, s70
	s_delay_alu instid0(VALU_DEP_1) | instskip(NEXT) | instid1(VALU_DEP_1)
	v_mul_lo_u32 v7, v6, s38
	v_sub_nc_u32_e32 v5, v5, v7
	v_add_nc_u32_e32 v7, 1, v6
	s_delay_alu instid0(VALU_DEP_2) | instskip(SKIP_2) | instid1(VALU_DEP_2)
	v_subrev_nc_u32_e32 v8, s38, v5
	v_cmp_le_u32_e32 vcc_lo, s38, v5
	s_wait_alu 0xfffd
	v_dual_cndmask_b32 v6, v6, v7 :: v_dual_cndmask_b32 v5, v5, v8
	v_ashrrev_i32_e32 v7, 31, v2
	s_delay_alu instid0(VALU_DEP_2) | instskip(NEXT) | instid1(VALU_DEP_3)
	v_add_nc_u32_e32 v8, 1, v6
	v_cmp_le_u32_e32 vcc_lo, s38, v5
	s_delay_alu instid0(VALU_DEP_3) | instskip(SKIP_1) | instid1(VALU_DEP_3)
	v_xor_b32_e32 v7, s16, v7
	s_wait_alu 0xfffd
	v_cndmask_b32_e32 v5, v6, v8, vcc_lo
	v_mul_lo_u32 v6, v3, s34
	v_mul_lo_u32 v8, v2, s18
	s_and_not1_b32 vcc_lo, exec_lo, s12
	s_delay_alu instid0(VALU_DEP_3) | instskip(NEXT) | instid1(VALU_DEP_3)
	v_xor_b32_e32 v5, v5, v7
	v_sub_nc_u32_e32 v12, v0, v6
	s_delay_alu instid0(VALU_DEP_2) | instskip(SKIP_2) | instid1(VALU_DEP_3)
	v_sub_nc_u32_e32 v15, v5, v7
	v_mul_lo_u32 v7, v4, s19
	v_sub_nc_u32_e32 v14, v4, v8
	v_mul_lo_u32 v5, v15, s17
	s_delay_alu instid0(VALU_DEP_3) | instskip(NEXT) | instid1(VALU_DEP_2)
	v_sub_nc_u32_e32 v13, v3, v7
	v_sub_nc_u32_e32 v2, v2, v5
	s_delay_alu instid0(VALU_DEP_1)
	v_ashrrev_i32_e32 v3, 31, v2
	s_wait_alu 0xfffe
	s_cbranch_vccnz .LBB2_14
; %bb.4:                                ;   in Loop: Header=BB2_3 Depth=1
	v_sub_nc_u32_e32 v4, 0, v2
	s_wait_kmcnt 0x0
	v_mul_lo_u32 v8, s24, v15
	v_mul_lo_u32 v11, v12, s6
	;; [unrolled: 1-line block ×3, first 2 shown]
	s_mov_b32 s3, 0
	v_max_i32_e32 v4, v2, v4
	s_delay_alu instid0(VALU_DEP_4) | instskip(NEXT) | instid1(VALU_DEP_2)
	v_ashrrev_i32_e32 v9, 31, v8
	v_mul_hi_u32 v5, v4, s72
	v_subrev_nc_u32_e32 v16, s9, v11
	v_ashrrev_i32_e32 v11, 31, v10
	s_delay_alu instid0(VALU_DEP_4) | instskip(NEXT) | instid1(VALU_DEP_3)
	v_lshlrev_b64_e32 v[8:9], 3, v[8:9]
	v_mul_lo_u32 v23, s60, v16
	s_delay_alu instid0(VALU_DEP_3) | instskip(SKIP_1) | instid1(VALU_DEP_3)
	v_lshlrev_b64_e32 v[10:11], 3, v[10:11]
	v_mul_lo_u32 v6, v5, s64
	v_ashrrev_i32_e32 v24, 31, v23
	s_delay_alu instid0(VALU_DEP_2) | instskip(SKIP_1) | instid1(VALU_DEP_2)
	v_sub_nc_u32_e32 v4, v4, v6
	v_add_nc_u32_e32 v6, 1, v5
	v_subrev_nc_u32_e32 v7, s64, v4
	v_cmp_le_u32_e32 vcc_lo, s64, v4
	s_wait_alu 0xfffd
	s_delay_alu instid0(VALU_DEP_2) | instskip(SKIP_1) | instid1(VALU_DEP_2)
	v_dual_cndmask_b32 v5, v5, v6 :: v_dual_cndmask_b32 v4, v4, v7
	v_xor_b32_e32 v7, s71, v3
	v_add_nc_u32_e32 v6, 1, v5
	s_delay_alu instid0(VALU_DEP_3) | instskip(SKIP_1) | instid1(VALU_DEP_2)
	v_cmp_le_u32_e32 vcc_lo, s64, v4
	s_wait_alu 0xfffd
	v_cndmask_b32_e32 v4, v5, v6, vcc_lo
	v_mul_lo_u32 v5, v14, s4
	v_add_co_u32 v25, vcc_lo, s44, v8
	s_wait_alu 0xfffd
	v_add_co_ci_u32_e64 v26, null, s45, v9, vcc_lo
	v_xor_b32_e32 v4, v4, v7
	s_delay_alu instid0(VALU_DEP_4) | instskip(NEXT) | instid1(VALU_DEP_2)
	v_subrev_nc_u32_e32 v6, s7, v5
	v_sub_nc_u32_e32 v4, v4, v7
	v_mul_lo_u32 v7, v13, s5
	s_delay_alu instid0(VALU_DEP_3) | instskip(NEXT) | instid1(VALU_DEP_3)
	v_mul_lo_u32 v19, s26, v6
	v_mul_lo_u32 v17, s25, v4
	v_mov_b32_e32 v4, 0
	v_mov_b32_e32 v5, 0
	v_subrev_nc_u32_e32 v7, s8, v7
	v_ashrrev_i32_e32 v20, 31, v19
	v_ashrrev_i32_e32 v18, 31, v17
	s_delay_alu instid0(VALU_DEP_3) | instskip(NEXT) | instid1(VALU_DEP_3)
	v_mul_lo_u32 v21, s27, v7
	v_lshlrev_b64_e32 v[8:9], 3, v[19:20]
	s_delay_alu instid0(VALU_DEP_3) | instskip(NEXT) | instid1(VALU_DEP_3)
	v_lshlrev_b64_e32 v[17:18], 3, v[17:18]
	v_ashrrev_i32_e32 v22, 31, v21
	s_delay_alu instid0(VALU_DEP_2) | instskip(SKIP_1) | instid1(VALU_DEP_3)
	v_add_co_u32 v19, vcc_lo, v25, v17
	s_wait_alu 0xfffd
	v_add_co_ci_u32_e64 v20, null, v26, v18, vcc_lo
	s_delay_alu instid0(VALU_DEP_3) | instskip(NEXT) | instid1(VALU_DEP_3)
	v_lshlrev_b64_e32 v[17:18], 3, v[21:22]
	v_add_co_u32 v19, vcc_lo, v19, v8
	s_wait_alu 0xfffd
	s_delay_alu instid0(VALU_DEP_3) | instskip(SKIP_1) | instid1(VALU_DEP_3)
	v_add_co_ci_u32_e64 v20, null, v20, v9, vcc_lo
	v_lshlrev_b64_e32 v[8:9], 3, v[23:24]
	v_add_co_u32 v17, vcc_lo, v19, v17
	s_wait_alu 0xfffd
	s_delay_alu instid0(VALU_DEP_3) | instskip(NEXT) | instid1(VALU_DEP_2)
	v_add_co_ci_u32_e64 v18, null, v20, v18, vcc_lo
	v_add_co_u32 v8, vcc_lo, v17, v8
	s_wait_alu 0xfffd
	s_delay_alu instid0(VALU_DEP_2)
	v_add_co_ci_u32_e64 v9, null, v18, v9, vcc_lo
	v_add_co_u32 v10, vcc_lo, s48, v10
	s_wait_alu 0xfffd
	v_add_co_ci_u32_e64 v11, null, s49, v11, vcc_lo
	s_branch .LBB2_6
.LBB2_5:                                ;   in Loop: Header=BB2_6 Depth=2
	v_add_co_u32 v8, vcc_lo, v8, s54
	s_wait_alu 0xfffd
	v_add_co_ci_u32_e64 v9, null, s55, v9, vcc_lo
	s_add_co_i32 s3, s3, 1
	s_wait_alu 0xfffe
	s_cmp_eq_u32 s3, s20
	s_cbranch_scc1 .LBB2_15
.LBB2_6:                                ;   Parent Loop BB2_3 Depth=1
                                        ; =>  This Loop Header: Depth=2
                                        ;       Child Loop BB2_9 Depth 3
                                        ;         Child Loop BB2_12 Depth 4
	s_and_not1_b32 vcc_lo, exec_lo, s33
	s_wait_alu 0xfffe
	s_cbranch_vccnz .LBB2_5
; %bb.7:                                ;   in Loop: Header=BB2_6 Depth=2
	v_mad_co_u64_u32 v[17:18], null, s3, s10, v[6:7]
	s_mov_b32 s41, 0
	v_cmp_lt_i32_e64 s0, -1, v17
	v_cmp_gt_i32_e64 s1, s13, v17
	s_branch .LBB2_9
.LBB2_8:                                ;   in Loop: Header=BB2_9 Depth=3
	v_add_co_u32 v8, vcc_lo, v8, s52
	s_wait_alu 0xfffd
	v_add_co_ci_u32_e64 v9, null, s53, v9, vcc_lo
	s_add_co_i32 s41, s41, 1
	s_wait_alu 0xfffe
	s_cmp_eq_u32 s41, s21
	s_cbranch_scc1 .LBB2_5
.LBB2_9:                                ;   Parent Loop BB2_3 Depth=1
                                        ;     Parent Loop BB2_6 Depth=2
                                        ; =>    This Loop Header: Depth=3
                                        ;         Child Loop BB2_12 Depth 4
	s_and_not1_b32 vcc_lo, exec_lo, s56
	s_wait_alu 0xfffe
	s_cbranch_vccnz .LBB2_8
; %bb.10:                               ;   in Loop: Header=BB2_9 Depth=3
	v_mad_co_u64_u32 v[18:19], null, s41, s11, v[7:8]
	v_mov_b32_e32 v17, v16
	s_mov_b32 s74, s22
	s_delay_alu instid0(VALU_DEP_2)
	v_cmp_lt_i32_e64 s2, -1, v18
	v_cmp_gt_i32_e32 vcc_lo, s14, v18
	s_and_b32 s73, s0, s2
	s_branch .LBB2_12
.LBB2_11:                               ;   in Loop: Header=BB2_12 Depth=4
	s_wait_alu 0xfffe
	s_or_b32 exec_lo, exec_lo, s2
	v_add_co_u32 v10, s2, v10, 8
	s_wait_alu 0xf1ff
	v_add_co_ci_u32_e64 v11, null, 0, v11, s2
	v_add_co_u32 v8, s2, v8, s50
	v_add_nc_u32_e32 v17, s40, v17
	s_wait_alu 0xf1ff
	v_add_co_ci_u32_e64 v9, null, s51, v9, s2
	s_add_co_i32 s74, s74, -1
	s_delay_alu instid0(SALU_CYCLE_1)
	s_cmp_eq_u32 s74, 0
	s_cbranch_scc1 .LBB2_8
.LBB2_12:                               ;   Parent Loop BB2_3 Depth=1
                                        ;     Parent Loop BB2_6 Depth=2
                                        ;       Parent Loop BB2_9 Depth=3
                                        ; =>      This Inner Loop Header: Depth=4
	v_cmp_lt_i32_e64 s2, -1, v17
	s_wait_alu 0xfffe
	s_and_b32 s75, s73, s2
	v_cmp_gt_i32_e64 s2, s15, v17
	s_and_b32 s75, s75, s1
	s_delay_alu instid0(SALU_CYCLE_1) | instskip(NEXT) | instid1(SALU_CYCLE_1)
	s_and_b32 s75, s75, vcc_lo
	s_and_b32 s75, s75, s2
	s_delay_alu instid0(SALU_CYCLE_1)
	s_and_saveexec_b32 s2, s75
	s_cbranch_execz .LBB2_11
; %bb.13:                               ;   in Loop: Header=BB2_12 Depth=4
	global_load_b64 v[18:19], v[10:11], off
	global_load_b64 v[20:21], v[8:9], off
	s_wait_loadcnt 0x0
	v_fma_f64 v[4:5], v[18:19], v[20:21], v[4:5]
	s_branch .LBB2_11
.LBB2_14:                               ;   in Loop: Header=BB2_3 Depth=1
	v_mov_b32_e32 v4, 0
	v_mov_b32_e32 v5, 0
.LBB2_15:                               ;   in Loop: Header=BB2_3 Depth=1
	s_and_b32 vcc_lo, exec_lo, s57
	s_wait_alu 0xfffe
	s_cbranch_vccz .LBB2_2
; %bb.16:                               ;   in Loop: Header=BB2_3 Depth=1
	v_lshlrev_b64_e32 v[6:7], 3, v[2:3]
	s_delay_alu instid0(VALU_DEP_1) | instskip(SKIP_1) | instid1(VALU_DEP_2)
	v_add_co_u32 v6, vcc_lo, s42, v6
	s_wait_alu 0xfffd
	v_add_co_ci_u32_e64 v7, null, s43, v7, vcc_lo
	global_load_b64 v[6:7], v[6:7], off
	s_wait_loadcnt 0x0
	v_add_f64_e32 v[4:5], v[4:5], v[6:7]
	s_branch .LBB2_2
.LBB2_17:
	s_endpgm
	.section	.rodata,"a",@progbits
	.p2align	6, 0x0
	.amdhsa_kernel _ZN2at6native12_GLOBAL__N_128conv_depthwise3d_cuda_kernelIddLin1ELin1ELin1ELin1ELin1ELin1EEEvN5torch10headeronly6detail27GenericPackedTensorAccessorINS5_14TensorAccessorIN3c108ArrayRefIlEEKT_Lm4ENS4_16DefaultPtrTraitsEiEENS_6detail16IndexBoundsCheckILm5EiEESC_Lm5ESD_iEENS6_INS7_ISA_SB_Lm4ESD_iEESH_SB_Lm5ESD_iEESI_PSC_iiiiiiiii
		.amdhsa_group_segment_fixed_size 0
		.amdhsa_private_segment_fixed_size 0
		.amdhsa_kernarg_size 448
		.amdhsa_user_sgpr_count 2
		.amdhsa_user_sgpr_dispatch_ptr 0
		.amdhsa_user_sgpr_queue_ptr 0
		.amdhsa_user_sgpr_kernarg_segment_ptr 1
		.amdhsa_user_sgpr_dispatch_id 0
		.amdhsa_user_sgpr_private_segment_size 0
		.amdhsa_wavefront_size32 1
		.amdhsa_uses_dynamic_stack 0
		.amdhsa_enable_private_segment 0
		.amdhsa_system_sgpr_workgroup_id_x 1
		.amdhsa_system_sgpr_workgroup_id_y 0
		.amdhsa_system_sgpr_workgroup_id_z 0
		.amdhsa_system_sgpr_workgroup_info 0
		.amdhsa_system_vgpr_workitem_id 0
		.amdhsa_next_free_vgpr 27
		.amdhsa_next_free_sgpr 76
		.amdhsa_reserve_vcc 1
		.amdhsa_float_round_mode_32 0
		.amdhsa_float_round_mode_16_64 0
		.amdhsa_float_denorm_mode_32 3
		.amdhsa_float_denorm_mode_16_64 3
		.amdhsa_fp16_overflow 0
		.amdhsa_workgroup_processor_mode 1
		.amdhsa_memory_ordered 1
		.amdhsa_forward_progress 1
		.amdhsa_inst_pref_size 19
		.amdhsa_round_robin_scheduling 0
		.amdhsa_exception_fp_ieee_invalid_op 0
		.amdhsa_exception_fp_denorm_src 0
		.amdhsa_exception_fp_ieee_div_zero 0
		.amdhsa_exception_fp_ieee_overflow 0
		.amdhsa_exception_fp_ieee_underflow 0
		.amdhsa_exception_fp_ieee_inexact 0
		.amdhsa_exception_int_div_zero 0
	.end_amdhsa_kernel
	.section	.text._ZN2at6native12_GLOBAL__N_128conv_depthwise3d_cuda_kernelIddLin1ELin1ELin1ELin1ELin1ELin1EEEvN5torch10headeronly6detail27GenericPackedTensorAccessorINS5_14TensorAccessorIN3c108ArrayRefIlEEKT_Lm4ENS4_16DefaultPtrTraitsEiEENS_6detail16IndexBoundsCheckILm5EiEESC_Lm5ESD_iEENS6_INS7_ISA_SB_Lm4ESD_iEESH_SB_Lm5ESD_iEESI_PSC_iiiiiiiii,"axG",@progbits,_ZN2at6native12_GLOBAL__N_128conv_depthwise3d_cuda_kernelIddLin1ELin1ELin1ELin1ELin1ELin1EEEvN5torch10headeronly6detail27GenericPackedTensorAccessorINS5_14TensorAccessorIN3c108ArrayRefIlEEKT_Lm4ENS4_16DefaultPtrTraitsEiEENS_6detail16IndexBoundsCheckILm5EiEESC_Lm5ESD_iEENS6_INS7_ISA_SB_Lm4ESD_iEESH_SB_Lm5ESD_iEESI_PSC_iiiiiiiii,comdat
.Lfunc_end2:
	.size	_ZN2at6native12_GLOBAL__N_128conv_depthwise3d_cuda_kernelIddLin1ELin1ELin1ELin1ELin1ELin1EEEvN5torch10headeronly6detail27GenericPackedTensorAccessorINS5_14TensorAccessorIN3c108ArrayRefIlEEKT_Lm4ENS4_16DefaultPtrTraitsEiEENS_6detail16IndexBoundsCheckILm5EiEESC_Lm5ESD_iEENS6_INS7_ISA_SB_Lm4ESD_iEESH_SB_Lm5ESD_iEESI_PSC_iiiiiiiii, .Lfunc_end2-_ZN2at6native12_GLOBAL__N_128conv_depthwise3d_cuda_kernelIddLin1ELin1ELin1ELin1ELin1ELin1EEEvN5torch10headeronly6detail27GenericPackedTensorAccessorINS5_14TensorAccessorIN3c108ArrayRefIlEEKT_Lm4ENS4_16DefaultPtrTraitsEiEENS_6detail16IndexBoundsCheckILm5EiEESC_Lm5ESD_iEENS6_INS7_ISA_SB_Lm4ESD_iEESH_SB_Lm5ESD_iEESI_PSC_iiiiiiiii
                                        ; -- End function
	.set _ZN2at6native12_GLOBAL__N_128conv_depthwise3d_cuda_kernelIddLin1ELin1ELin1ELin1ELin1ELin1EEEvN5torch10headeronly6detail27GenericPackedTensorAccessorINS5_14TensorAccessorIN3c108ArrayRefIlEEKT_Lm4ENS4_16DefaultPtrTraitsEiEENS_6detail16IndexBoundsCheckILm5EiEESC_Lm5ESD_iEENS6_INS7_ISA_SB_Lm4ESD_iEESH_SB_Lm5ESD_iEESI_PSC_iiiiiiiii.num_vgpr, 27
	.set _ZN2at6native12_GLOBAL__N_128conv_depthwise3d_cuda_kernelIddLin1ELin1ELin1ELin1ELin1ELin1EEEvN5torch10headeronly6detail27GenericPackedTensorAccessorINS5_14TensorAccessorIN3c108ArrayRefIlEEKT_Lm4ENS4_16DefaultPtrTraitsEiEENS_6detail16IndexBoundsCheckILm5EiEESC_Lm5ESD_iEENS6_INS7_ISA_SB_Lm4ESD_iEESH_SB_Lm5ESD_iEESI_PSC_iiiiiiiii.num_agpr, 0
	.set _ZN2at6native12_GLOBAL__N_128conv_depthwise3d_cuda_kernelIddLin1ELin1ELin1ELin1ELin1ELin1EEEvN5torch10headeronly6detail27GenericPackedTensorAccessorINS5_14TensorAccessorIN3c108ArrayRefIlEEKT_Lm4ENS4_16DefaultPtrTraitsEiEENS_6detail16IndexBoundsCheckILm5EiEESC_Lm5ESD_iEENS6_INS7_ISA_SB_Lm4ESD_iEESH_SB_Lm5ESD_iEESI_PSC_iiiiiiiii.numbered_sgpr, 76
	.set _ZN2at6native12_GLOBAL__N_128conv_depthwise3d_cuda_kernelIddLin1ELin1ELin1ELin1ELin1ELin1EEEvN5torch10headeronly6detail27GenericPackedTensorAccessorINS5_14TensorAccessorIN3c108ArrayRefIlEEKT_Lm4ENS4_16DefaultPtrTraitsEiEENS_6detail16IndexBoundsCheckILm5EiEESC_Lm5ESD_iEENS6_INS7_ISA_SB_Lm4ESD_iEESH_SB_Lm5ESD_iEESI_PSC_iiiiiiiii.num_named_barrier, 0
	.set _ZN2at6native12_GLOBAL__N_128conv_depthwise3d_cuda_kernelIddLin1ELin1ELin1ELin1ELin1ELin1EEEvN5torch10headeronly6detail27GenericPackedTensorAccessorINS5_14TensorAccessorIN3c108ArrayRefIlEEKT_Lm4ENS4_16DefaultPtrTraitsEiEENS_6detail16IndexBoundsCheckILm5EiEESC_Lm5ESD_iEENS6_INS7_ISA_SB_Lm4ESD_iEESH_SB_Lm5ESD_iEESI_PSC_iiiiiiiii.private_seg_size, 0
	.set _ZN2at6native12_GLOBAL__N_128conv_depthwise3d_cuda_kernelIddLin1ELin1ELin1ELin1ELin1ELin1EEEvN5torch10headeronly6detail27GenericPackedTensorAccessorINS5_14TensorAccessorIN3c108ArrayRefIlEEKT_Lm4ENS4_16DefaultPtrTraitsEiEENS_6detail16IndexBoundsCheckILm5EiEESC_Lm5ESD_iEENS6_INS7_ISA_SB_Lm4ESD_iEESH_SB_Lm5ESD_iEESI_PSC_iiiiiiiii.uses_vcc, 1
	.set _ZN2at6native12_GLOBAL__N_128conv_depthwise3d_cuda_kernelIddLin1ELin1ELin1ELin1ELin1ELin1EEEvN5torch10headeronly6detail27GenericPackedTensorAccessorINS5_14TensorAccessorIN3c108ArrayRefIlEEKT_Lm4ENS4_16DefaultPtrTraitsEiEENS_6detail16IndexBoundsCheckILm5EiEESC_Lm5ESD_iEENS6_INS7_ISA_SB_Lm4ESD_iEESH_SB_Lm5ESD_iEESI_PSC_iiiiiiiii.uses_flat_scratch, 0
	.set _ZN2at6native12_GLOBAL__N_128conv_depthwise3d_cuda_kernelIddLin1ELin1ELin1ELin1ELin1ELin1EEEvN5torch10headeronly6detail27GenericPackedTensorAccessorINS5_14TensorAccessorIN3c108ArrayRefIlEEKT_Lm4ENS4_16DefaultPtrTraitsEiEENS_6detail16IndexBoundsCheckILm5EiEESC_Lm5ESD_iEENS6_INS7_ISA_SB_Lm4ESD_iEESH_SB_Lm5ESD_iEESI_PSC_iiiiiiiii.has_dyn_sized_stack, 0
	.set _ZN2at6native12_GLOBAL__N_128conv_depthwise3d_cuda_kernelIddLin1ELin1ELin1ELin1ELin1ELin1EEEvN5torch10headeronly6detail27GenericPackedTensorAccessorINS5_14TensorAccessorIN3c108ArrayRefIlEEKT_Lm4ENS4_16DefaultPtrTraitsEiEENS_6detail16IndexBoundsCheckILm5EiEESC_Lm5ESD_iEENS6_INS7_ISA_SB_Lm4ESD_iEESH_SB_Lm5ESD_iEESI_PSC_iiiiiiiii.has_recursion, 0
	.set _ZN2at6native12_GLOBAL__N_128conv_depthwise3d_cuda_kernelIddLin1ELin1ELin1ELin1ELin1ELin1EEEvN5torch10headeronly6detail27GenericPackedTensorAccessorINS5_14TensorAccessorIN3c108ArrayRefIlEEKT_Lm4ENS4_16DefaultPtrTraitsEiEENS_6detail16IndexBoundsCheckILm5EiEESC_Lm5ESD_iEENS6_INS7_ISA_SB_Lm4ESD_iEESH_SB_Lm5ESD_iEESI_PSC_iiiiiiiii.has_indirect_call, 0
	.section	.AMDGPU.csdata,"",@progbits
; Kernel info:
; codeLenInByte = 2308
; TotalNumSgprs: 78
; NumVgprs: 27
; ScratchSize: 0
; MemoryBound: 1
; FloatMode: 240
; IeeeMode: 1
; LDSByteSize: 0 bytes/workgroup (compile time only)
; SGPRBlocks: 0
; VGPRBlocks: 3
; NumSGPRsForWavesPerEU: 78
; NumVGPRsForWavesPerEU: 27
; Occupancy: 16
; WaveLimiterHint : 0
; COMPUTE_PGM_RSRC2:SCRATCH_EN: 0
; COMPUTE_PGM_RSRC2:USER_SGPR: 2
; COMPUTE_PGM_RSRC2:TRAP_HANDLER: 0
; COMPUTE_PGM_RSRC2:TGID_X_EN: 1
; COMPUTE_PGM_RSRC2:TGID_Y_EN: 0
; COMPUTE_PGM_RSRC2:TGID_Z_EN: 0
; COMPUTE_PGM_RSRC2:TIDIG_COMP_CNT: 0
	.section	.text._ZN2at6native12_GLOBAL__N_128conv_depthwise3d_cuda_kernelIffLi3ELi3ELi3ELi1ELi1ELi1EEEvN5torch10headeronly6detail27GenericPackedTensorAccessorINS5_14TensorAccessorIN3c108ArrayRefIlEEKT_Lm4ENS4_16DefaultPtrTraitsEiEENS_6detail16IndexBoundsCheckILm5EiEESC_Lm5ESD_iEENS6_INS7_ISA_SB_Lm4ESD_iEESH_SB_Lm5ESD_iEESI_PSC_iiiiiiiii,"axG",@progbits,_ZN2at6native12_GLOBAL__N_128conv_depthwise3d_cuda_kernelIffLi3ELi3ELi3ELi1ELi1ELi1EEEvN5torch10headeronly6detail27GenericPackedTensorAccessorINS5_14TensorAccessorIN3c108ArrayRefIlEEKT_Lm4ENS4_16DefaultPtrTraitsEiEENS_6detail16IndexBoundsCheckILm5EiEESC_Lm5ESD_iEENS6_INS7_ISA_SB_Lm4ESD_iEESH_SB_Lm5ESD_iEESI_PSC_iiiiiiiii,comdat
	.globl	_ZN2at6native12_GLOBAL__N_128conv_depthwise3d_cuda_kernelIffLi3ELi3ELi3ELi1ELi1ELi1EEEvN5torch10headeronly6detail27GenericPackedTensorAccessorINS5_14TensorAccessorIN3c108ArrayRefIlEEKT_Lm4ENS4_16DefaultPtrTraitsEiEENS_6detail16IndexBoundsCheckILm5EiEESC_Lm5ESD_iEENS6_INS7_ISA_SB_Lm4ESD_iEESH_SB_Lm5ESD_iEESI_PSC_iiiiiiiii ; -- Begin function _ZN2at6native12_GLOBAL__N_128conv_depthwise3d_cuda_kernelIffLi3ELi3ELi3ELi1ELi1ELi1EEEvN5torch10headeronly6detail27GenericPackedTensorAccessorINS5_14TensorAccessorIN3c108ArrayRefIlEEKT_Lm4ENS4_16DefaultPtrTraitsEiEENS_6detail16IndexBoundsCheckILm5EiEESC_Lm5ESD_iEENS6_INS7_ISA_SB_Lm4ESD_iEESH_SB_Lm5ESD_iEESI_PSC_iiiiiiiii
	.p2align	8
	.type	_ZN2at6native12_GLOBAL__N_128conv_depthwise3d_cuda_kernelIffLi3ELi3ELi3ELi1ELi1ELi1EEEvN5torch10headeronly6detail27GenericPackedTensorAccessorINS5_14TensorAccessorIN3c108ArrayRefIlEEKT_Lm4ENS4_16DefaultPtrTraitsEiEENS_6detail16IndexBoundsCheckILm5EiEESC_Lm5ESD_iEENS6_INS7_ISA_SB_Lm4ESD_iEESH_SB_Lm5ESD_iEESI_PSC_iiiiiiiii,@function
_ZN2at6native12_GLOBAL__N_128conv_depthwise3d_cuda_kernelIffLi3ELi3ELi3ELi1ELi1ELi1EEEvN5torch10headeronly6detail27GenericPackedTensorAccessorINS5_14TensorAccessorIN3c108ArrayRefIlEEKT_Lm4ENS4_16DefaultPtrTraitsEiEENS_6detail16IndexBoundsCheckILm5EiEESC_Lm5ESD_iEENS6_INS7_ISA_SB_Lm4ESD_iEESH_SB_Lm5ESD_iEESI_PSC_iiiiiiiii: ; @_ZN2at6native12_GLOBAL__N_128conv_depthwise3d_cuda_kernelIffLi3ELi3ELi3ELi1ELi1ELi1EEEvN5torch10headeronly6detail27GenericPackedTensorAccessorINS5_14TensorAccessorIN3c108ArrayRefIlEEKT_Lm4ENS4_16DefaultPtrTraitsEiEENS_6detail16IndexBoundsCheckILm5EiEESC_Lm5ESD_iEENS6_INS7_ISA_SB_Lm4ESD_iEESH_SB_Lm5ESD_iEESI_PSC_iiiiiiiii
; %bb.0:
	s_clause 0x3
	s_load_b128 s[16:19], s[0:1], 0xc
	s_load_b32 s2, s[0:1], 0xcc
	s_load_b64 s[34:35], s[0:1], 0x48
	s_load_b128 s[20:23], s[0:1], 0x38
	s_mov_b32 s15, 0
	s_mov_b32 s14, ttmp9
	s_mov_b32 s3, s15
	v_mov_b32_e32 v7, 0
	s_wait_kmcnt 0x0
	s_abs_i32 s4, s16
	s_and_b32 s2, s2, 0xffff
	s_cvt_f32_u32 s5, s4
	s_mul_u64 s[40:41], s[2:3], s[14:15]
	s_mul_i32 s42, s35, s20
	v_add_co_u32 v1, s3, s40, v0
	v_rcp_iflag_f32_e32 v3, s5
	v_add_co_ci_u32_e64 v2, null, s41, 0, s3
	s_ashr_i32 s43, s42, 31
	s_mov_b32 s5, exec_lo
	s_delay_alu instid0(TRANS32_DEP_1)
	v_readfirstlane_b32 s3, v3
	v_cmpx_gt_i64_e64 s[42:43], v[1:2]
	s_cbranch_execz .LBB3_59
; %bb.1:
	s_mul_f32 s3, s3, 0x4f7ffffe
	s_sub_co_i32 s5, 0, s4
	s_abs_i32 s14, s21
	s_mov_b32 s7, s15
	s_wait_alu 0xfffe
	s_cvt_u32_f32 s3, s3
	s_clause 0x2
	s_load_b64 s[44:45], s[0:1], 0x90
	s_load_b128 s[24:27], s[0:1], 0x98
	s_load_b64 s[46:47], s[0:1], 0xa8
	s_ashr_i32 s20, s21, 31
	s_add_nc_u64 s[8:9], s[0:1], 0xc0
	s_mul_i32 s5, s5, s3
	s_load_b32 s8, s[8:9], 0x0
	s_mul_hi_u32 s5, s3, s5
	s_clause 0x1
	s_load_b64 s[48:49], s[0:1], 0x0
	s_load_b128 s[28:31], s[0:1], 0x1c
	s_add_co_i32 s6, s3, s5
	s_ashr_i32 s3, s16, 31
	s_mul_u64 s[6:7], s[14:15], s[6:7]
	s_wait_alu 0xfffe
	s_xor_b32 s3, s20, s3
	s_mul_i32 s5, s7, s4
	s_add_co_i32 s6, s7, 1
	s_wait_alu 0xfffe
	s_sub_co_i32 s5, s14, s5
	s_load_b32 s16, s[0:1], 0x7c
	s_sub_co_i32 s10, s5, s4
	s_cmp_ge_u32 s5, s4
	s_clause 0x1
	s_load_b32 s60, s[0:1], 0x2c
	s_load_b64 s[50:51], s[0:1], 0x30
	s_cselect_b32 s6, s6, s7
	s_cselect_b32 s5, s10, s5
	s_add_co_i32 s7, s6, 1
	s_wait_alu 0xfffe
	s_cmp_ge_u32 s5, s4
	s_clause 0x1
	s_load_b64 s[52:53], s[0:1], 0x60
	s_load_b128 s[36:39], s[0:1], 0x50
	s_cselect_b32 s4, s7, s6
	s_add_co_i32 s6, s18, -3
	s_wait_alu 0xfffe
	s_xor_b32 s4, s4, s3
	s_mul_i32 s6, s19, s6
	s_ashr_i32 s5, s19, 31
	s_wait_alu 0xfffe
	s_sub_co_i32 s3, s4, s3
	s_ashr_i32 s7, s6, 31
	s_wait_kmcnt 0x0
	s_cmp_lg_u64 s[44:45], 0
	s_cvt_f32_u32 s10, s14
	s_cselect_b32 s33, -1, 0
	s_abs_i32 s58, s34
	s_abs_i32 s59, s23
	s_cvt_f32_u32 s4, s58
	s_cvt_f32_u32 s9, s59
	s_abs_i32 s61, s22
	s_wait_alu 0xfffe
	s_abs_i32 s64, s3
	v_rcp_iflag_f32_e32 v1, s4
	v_rcp_iflag_f32_e32 v2, s9
	s_cvt_f32_u32 s0, s61
	v_rcp_iflag_f32_e32 v3, s10
	s_cvt_f32_u32 s10, s64
	s_mul_i32 s62, s8, s2
	s_sub_co_i32 s8, 0, s58
	s_sub_co_i32 s9, 0, s59
	s_mov_b32 s4, s19
	s_ashr_i32 s63, s34, 31
	v_readfirstlane_b32 s1, v1
	v_rcp_iflag_f32_e32 v1, s0
	v_readfirstlane_b32 s0, v2
	s_ashr_i32 s66, s23, 31
	s_ashr_i32 s68, s22, 31
	s_mul_f32 s1, s1, 0x4f7ffffe
	s_ashr_i32 s71, s3, 31
	s_mul_f32 s0, s0, 0x4f7ffffe
	s_wait_alu 0xfffe
	s_mul_i32 s73, ttmp9, s2
	s_cvt_u32_f32 s1, s1
	s_lshl_b64 s[54:55], s[4:5], 2
	v_readfirstlane_b32 s11, v1
	v_rcp_iflag_f32_e32 v1, s10
	s_cvt_u32_f32 s0, s0
	s_wait_alu 0xfffe
	s_mul_i32 s8, s8, s1
	s_lshl_b64 s[56:57], s[6:7], 2
	s_wait_alu 0xfffe
	s_mul_hi_u32 s8, s1, s8
	s_mul_i32 s9, s9, s0
	s_mul_f32 s10, s11, 0x4f7ffffe
	s_wait_alu 0xfffe
	s_add_co_i32 s65, s1, s8
	s_mul_hi_u32 s1, s0, s9
	v_readfirstlane_b32 s9, v3
	s_wait_alu 0xfffe
	s_add_co_i32 s67, s0, s1
	v_readfirstlane_b32 s1, v1
	s_cvt_u32_f32 s8, s10
	s_sub_co_i32 s0, 0, s61
	s_mul_f32 s9, s9, 0x4f7ffffe
	s_wait_alu 0xfffe
	s_mul_i32 s0, s0, s8
	s_mul_f32 s1, s1, 0x4f7ffffe
	s_wait_alu 0xfffe
	s_mul_hi_u32 s0, s8, s0
	s_cvt_u32_f32 s9, s9
	s_wait_alu 0xfffe
	s_add_co_i32 s69, s8, s0
	s_sub_co_i32 s0, 0, s14
	s_cvt_u32_f32 s1, s1
	s_wait_alu 0xfffe
	s_mul_i32 s0, s0, s9
	s_sub_co_i32 s8, 0, s64
	s_wait_alu 0xfffe
	s_mul_hi_u32 s0, s9, s0
	s_mul_i32 s8, s8, s1
	s_wait_alu 0xfffe
	s_add_co_i32 s70, s9, s0
	s_mul_hi_u32 s0, s1, s8
	s_wait_alu 0xfffe
	s_add_co_i32 s72, s1, s0
	s_branch .LBB3_3
.LBB3_2:                                ;   in Loop: Header=BB3_3 Depth=1
	v_mul_lo_u32 v2, v9, s35
	v_mul_lo_u32 v4, s36, v1
	;; [unrolled: 1-line block ×4, first 2 shown]
	v_add_co_u32 v0, vcc_lo, v0, s62
	s_wait_alu 0xfffd
	v_add_co_ci_u32_e64 v7, null, 0, v7, vcc_lo
	v_ashrrev_i32_e32 v3, 31, v2
	v_ashrrev_i32_e32 v5, 31, v4
	v_mul_lo_u32 v13, s39, v8
	v_ashrrev_i32_e32 v10, 31, v9
	s_delay_alu instid0(VALU_DEP_4) | instskip(SKIP_3) | instid1(VALU_DEP_4)
	v_lshlrev_b64_e32 v[15:16], 2, v[2:3]
	v_ashrrev_i32_e32 v2, 31, v1
	v_lshlrev_b64_e32 v[3:4], 2, v[4:5]
	v_ashrrev_i32_e32 v14, 31, v13
	v_add_co_u32 v5, vcc_lo, s50, v15
	s_wait_alu 0xfffd
	v_add_co_ci_u32_e64 v6, null, s51, v16, vcc_lo
	v_lshlrev_b64_e32 v[1:2], 2, v[1:2]
	s_delay_alu instid0(VALU_DEP_3) | instskip(SKIP_1) | instid1(VALU_DEP_3)
	v_add_co_u32 v5, vcc_lo, v5, v3
	s_wait_alu 0xfffd
	v_add_co_ci_u32_e64 v6, null, v6, v4, vcc_lo
	v_lshlrev_b64_e32 v[3:4], 2, v[9:10]
	s_delay_alu instid0(VALU_DEP_3) | instskip(SKIP_1) | instid1(VALU_DEP_3)
	v_add_co_u32 v8, vcc_lo, v5, v1
	s_wait_alu 0xfffd
	v_add_co_ci_u32_e64 v9, null, v6, v2, vcc_lo
	v_add_co_u32 v5, vcc_lo, s40, v0
	v_lshlrev_b64_e32 v[1:2], 2, v[13:14]
	s_wait_alu 0xfffd
	v_add_co_ci_u32_e64 v6, null, s41, v7, vcc_lo
	v_add_co_u32 v3, vcc_lo, v8, v3
	s_wait_alu 0xfffd
	v_add_co_ci_u32_e64 v4, null, v9, v4, vcc_lo
	s_delay_alu instid0(VALU_DEP_3) | instskip(NEXT) | instid1(VALU_DEP_3)
	v_cmp_le_i64_e32 vcc_lo, s[42:43], v[5:6]
	v_add_co_u32 v1, s0, v3, v1
	s_wait_alu 0xf1ff
	s_delay_alu instid0(VALU_DEP_3)
	v_add_co_ci_u32_e64 v2, null, v4, v2, s0
	s_or_b32 s15, vcc_lo, s15
	global_store_b32 v[1:2], v12, off
	s_wait_alu 0xfffe
	s_and_not1_b32 exec_lo, exec_lo, s15
	s_cbranch_execz .LBB3_59
.LBB3_3:                                ; =>This Inner Loop Header: Depth=1
	v_add_nc_u32_e32 v2, s73, v0
	s_delay_alu instid0(VALU_DEP_1) | instskip(NEXT) | instid1(VALU_DEP_1)
	v_sub_nc_u32_e32 v1, 0, v2
	v_max_i32_e32 v1, v2, v1
	s_delay_alu instid0(VALU_DEP_1) | instskip(NEXT) | instid1(VALU_DEP_1)
	v_mul_hi_u32 v3, v1, s65
	v_mul_lo_u32 v4, v3, s58
	s_delay_alu instid0(VALU_DEP_1) | instskip(SKIP_1) | instid1(VALU_DEP_2)
	v_sub_nc_u32_e32 v1, v1, v4
	v_add_nc_u32_e32 v4, 1, v3
	v_subrev_nc_u32_e32 v5, s58, v1
	v_cmp_le_u32_e32 vcc_lo, s58, v1
	s_wait_alu 0xfffd
	s_delay_alu instid0(VALU_DEP_3) | instskip(NEXT) | instid1(VALU_DEP_3)
	v_cndmask_b32_e32 v3, v3, v4, vcc_lo
	v_cndmask_b32_e32 v1, v1, v5, vcc_lo
	v_ashrrev_i32_e32 v4, 31, v2
	s_delay_alu instid0(VALU_DEP_3) | instskip(NEXT) | instid1(VALU_DEP_3)
	v_add_nc_u32_e32 v5, 1, v3
	v_cmp_le_u32_e32 vcc_lo, s58, v1
	s_delay_alu instid0(VALU_DEP_3) | instskip(SKIP_1) | instid1(VALU_DEP_3)
	v_xor_b32_e32 v4, s63, v4
	s_wait_alu 0xfffd
	v_cndmask_b32_e32 v1, v3, v5, vcc_lo
	s_delay_alu instid0(VALU_DEP_1) | instskip(NEXT) | instid1(VALU_DEP_1)
	v_xor_b32_e32 v1, v1, v4
	v_sub_nc_u32_e32 v4, v1, v4
	s_delay_alu instid0(VALU_DEP_1) | instskip(NEXT) | instid1(VALU_DEP_1)
	v_sub_nc_u32_e32 v1, 0, v4
	v_max_i32_e32 v1, v4, v1
	s_delay_alu instid0(VALU_DEP_1) | instskip(NEXT) | instid1(VALU_DEP_1)
	v_mul_hi_u32 v3, v1, s67
	v_mul_lo_u32 v5, v3, s59
	s_delay_alu instid0(VALU_DEP_1) | instskip(SKIP_1) | instid1(VALU_DEP_2)
	v_sub_nc_u32_e32 v1, v1, v5
	v_add_nc_u32_e32 v5, 1, v3
	v_subrev_nc_u32_e32 v6, s59, v1
	v_cmp_le_u32_e32 vcc_lo, s59, v1
	s_wait_alu 0xfffd
	s_delay_alu instid0(VALU_DEP_3) | instskip(NEXT) | instid1(VALU_DEP_3)
	v_cndmask_b32_e32 v3, v3, v5, vcc_lo
	v_cndmask_b32_e32 v1, v1, v6, vcc_lo
	v_ashrrev_i32_e32 v5, 31, v4
	s_delay_alu instid0(VALU_DEP_3) | instskip(NEXT) | instid1(VALU_DEP_3)
	v_add_nc_u32_e32 v6, 1, v3
	v_cmp_le_u32_e32 vcc_lo, s59, v1
	s_delay_alu instid0(VALU_DEP_3) | instskip(SKIP_1) | instid1(VALU_DEP_3)
	v_xor_b32_e32 v5, s66, v5
	s_wait_alu 0xfffd
	v_cndmask_b32_e32 v1, v3, v6, vcc_lo
	s_delay_alu instid0(VALU_DEP_1) | instskip(NEXT) | instid1(VALU_DEP_1)
	v_xor_b32_e32 v1, v1, v5
	v_sub_nc_u32_e32 v5, v1, v5
	s_delay_alu instid0(VALU_DEP_1) | instskip(SKIP_1) | instid1(VALU_DEP_2)
	v_sub_nc_u32_e32 v1, 0, v5
	v_mul_lo_u32 v10, v5, s23
	v_max_i32_e32 v1, v5, v1
	s_delay_alu instid0(VALU_DEP_2) | instskip(NEXT) | instid1(VALU_DEP_2)
	v_sub_nc_u32_e32 v10, v4, v10
	v_mul_hi_u32 v3, v1, s69
	s_delay_alu instid0(VALU_DEP_2) | instskip(NEXT) | instid1(VALU_DEP_2)
	v_mul_lo_u32 v13, v10, s25
	v_mul_lo_u32 v6, v3, s61
	s_delay_alu instid0(VALU_DEP_1) | instskip(SKIP_1) | instid1(VALU_DEP_2)
	v_sub_nc_u32_e32 v1, v1, v6
	v_add_nc_u32_e32 v6, 1, v3
	v_subrev_nc_u32_e32 v8, s61, v1
	v_cmp_le_u32_e32 vcc_lo, s61, v1
	s_wait_alu 0xfffd
	s_delay_alu instid0(VALU_DEP_3) | instskip(NEXT) | instid1(VALU_DEP_3)
	v_cndmask_b32_e32 v3, v3, v6, vcc_lo
	v_cndmask_b32_e32 v1, v1, v8, vcc_lo
	v_ashrrev_i32_e32 v6, 31, v5
	s_delay_alu instid0(VALU_DEP_3) | instskip(NEXT) | instid1(VALU_DEP_3)
	v_add_nc_u32_e32 v8, 1, v3
	v_cmp_le_u32_e32 vcc_lo, s61, v1
	s_delay_alu instid0(VALU_DEP_3) | instskip(SKIP_1) | instid1(VALU_DEP_3)
	v_xor_b32_e32 v6, s68, v6
	s_wait_alu 0xfffd
	v_cndmask_b32_e32 v1, v3, v8, vcc_lo
	s_delay_alu instid0(VALU_DEP_1) | instskip(NEXT) | instid1(VALU_DEP_1)
	v_xor_b32_e32 v1, v1, v6
	v_sub_nc_u32_e32 v6, v1, v6
	s_delay_alu instid0(VALU_DEP_1) | instskip(NEXT) | instid1(VALU_DEP_1)
	v_sub_nc_u32_e32 v1, 0, v6
	v_max_i32_e32 v1, v6, v1
	s_delay_alu instid0(VALU_DEP_1) | instskip(NEXT) | instid1(VALU_DEP_1)
	v_mul_hi_u32 v3, v1, s70
	v_mul_lo_u32 v8, v3, s14
	s_delay_alu instid0(VALU_DEP_1) | instskip(SKIP_1) | instid1(VALU_DEP_2)
	v_sub_nc_u32_e32 v1, v1, v8
	v_add_nc_u32_e32 v8, 1, v3
	v_subrev_nc_u32_e32 v9, s14, v1
	v_cmp_le_u32_e32 vcc_lo, s14, v1
	s_wait_alu 0xfffd
	s_delay_alu instid0(VALU_DEP_3) | instskip(NEXT) | instid1(VALU_DEP_3)
	v_cndmask_b32_e32 v3, v3, v8, vcc_lo
	v_cndmask_b32_e32 v1, v1, v9, vcc_lo
	v_ashrrev_i32_e32 v8, 31, v6
	s_delay_alu instid0(VALU_DEP_3) | instskip(NEXT) | instid1(VALU_DEP_3)
	v_add_nc_u32_e32 v9, 1, v3
	v_cmp_le_u32_e32 vcc_lo, s14, v1
	s_delay_alu instid0(VALU_DEP_3) | instskip(SKIP_1) | instid1(VALU_DEP_3)
	v_xor_b32_e32 v8, s20, v8
	s_wait_alu 0xfffd
	v_cndmask_b32_e32 v1, v3, v9, vcc_lo
	v_mul_lo_u32 v3, v4, s34
	s_delay_alu instid0(VALU_DEP_2) | instskip(NEXT) | instid1(VALU_DEP_1)
	v_xor_b32_e32 v1, v1, v8
	v_sub_nc_u32_e32 v9, v1, v8
	s_delay_alu instid0(VALU_DEP_1) | instskip(NEXT) | instid1(VALU_DEP_1)
	v_mul_lo_u32 v1, v9, s21
	v_sub_nc_u32_e32 v1, v6, v1
	v_mul_lo_u32 v6, v6, s22
	s_delay_alu instid0(VALU_DEP_2) | instskip(NEXT) | instid1(VALU_DEP_1)
	v_sub_nc_u32_e32 v8, 0, v1
	v_max_i32_e32 v11, v1, v8
	v_sub_nc_u32_e32 v8, v2, v3
	s_delay_alu instid0(VALU_DEP_2) | instskip(NEXT) | instid1(VALU_DEP_2)
	v_mul_hi_u32 v2, v11, s72
	v_mul_lo_u32 v3, v8, s26
	s_delay_alu instid0(VALU_DEP_2) | instskip(SKIP_1) | instid1(VALU_DEP_3)
	v_mul_lo_u32 v12, v2, s64
	v_add_nc_u32_e32 v4, 1, v2
	v_subrev_nc_u32_e32 v15, s47, v3
	s_delay_alu instid0(VALU_DEP_1) | instskip(NEXT) | instid1(VALU_DEP_4)
	v_mul_lo_u32 v3, s60, v15
	v_sub_nc_u32_e32 v12, v11, v12
	v_sub_nc_u32_e32 v11, v5, v6
	v_cmp_lt_i32_e64 s0, -1, v15
	s_delay_alu instid0(VALU_DEP_3) | instskip(SKIP_2) | instid1(VALU_DEP_2)
	v_subrev_nc_u32_e32 v14, s64, v12
	v_cmp_le_u32_e32 vcc_lo, s64, v12
	s_wait_alu 0xfffd
	v_dual_cndmask_b32 v16, v2, v4 :: v_dual_cndmask_b32 v5, v12, v14
	v_ashrrev_i32_e32 v2, 31, v1
	v_ashrrev_i32_e32 v4, 31, v3
	v_mul_lo_u32 v12, v11, s24
	s_delay_alu instid0(VALU_DEP_4)
	v_add_nc_u32_e32 v6, 1, v16
	v_cmp_le_u32_e32 vcc_lo, s64, v5
	v_xor_b32_e32 v18, s71, v2
	v_subrev_nc_u32_e32 v14, s46, v13
	s_wait_alu 0xfffd
	v_cndmask_b32_e32 v6, v16, v6, vcc_lo
	v_lshlrev_b64_e32 v[16:17], 2, v[3:4]
	v_mul_lo_u32 v3, s28, v9
	v_subrev_nc_u32_e32 v13, s27, v12
	v_mul_lo_u32 v5, s31, v14
	v_xor_b32_e32 v19, v6, v18
	v_cmp_gt_i32_e64 s5, s18, v14
	v_cmp_gt_i32_e32 vcc_lo, s19, v15
	v_or_b32_e32 v12, v13, v14
	v_cmp_gt_i32_e64 s11, s17, v13
	v_sub_nc_u32_e32 v4, v19, v18
	v_mul_lo_u32 v18, s30, v13
	v_ashrrev_i32_e32 v6, 31, v5
	v_or_b32_e32 v22, v12, v15
	v_cmp_lt_i32_e64 s4, -1, v12
	v_mul_lo_u32 v20, s29, v4
	v_ashrrev_i32_e32 v4, 31, v3
	v_lshlrev_b64_e32 v[5:6], 2, v[5:6]
	v_cmp_lt_i32_e64 s1, -1, v22
	v_ashrrev_i32_e32 v19, 31, v18
	v_mul_lo_u32 v22, s16, v1
	v_lshlrev_b64_e32 v[3:4], 2, v[3:4]
	v_cmp_lt_i32_e64 s6, -1, v14
	v_ashrrev_i32_e32 v21, 31, v20
	v_lshlrev_b64_e32 v[18:19], 2, v[18:19]
	v_cmp_lt_i32_e64 s8, -1, v13
	v_add_co_u32 v3, s2, s48, v3
	s_delay_alu instid0(VALU_DEP_4)
	v_lshlrev_b64_e32 v[20:21], 2, v[20:21]
	s_wait_alu 0xf1ff
	v_add_co_ci_u32_e64 v4, null, s49, v4, s2
	s_and_b32 s2, s1, s11
	v_ashrrev_i32_e32 v23, 31, v22
	v_add_co_u32 v3, s1, v3, v20
	s_wait_alu 0xf1ff
	v_add_co_ci_u32_e64 v4, null, v4, v21, s1
	s_delay_alu instid0(VALU_DEP_2) | instskip(SKIP_1) | instid1(VALU_DEP_2)
	v_add_co_u32 v12, s1, v3, v18
	s_wait_alu 0xf1ff
	v_add_co_ci_u32_e64 v18, null, v4, v19, s1
	v_lshlrev_b64_e32 v[3:4], 2, v[22:23]
	s_delay_alu instid0(VALU_DEP_3) | instskip(SKIP_1) | instid1(VALU_DEP_3)
	v_add_co_u32 v5, s1, v12, v5
	s_wait_alu 0xf1ff
	v_add_co_ci_u32_e64 v6, null, v18, v6, s1
	v_mov_b32_e32 v12, 0
	s_delay_alu instid0(VALU_DEP_4)
	v_add_co_u32 v3, s1, s52, v3
	s_wait_alu 0xf1ff
	v_add_co_ci_u32_e64 v4, null, s53, v4, s1
	v_add_co_u32 v5, s1, v5, v16
	s_wait_alu 0xf1ff
	v_add_co_ci_u32_e64 v6, null, v6, v17, s1
	s_wait_alu 0xfffe
	s_and_b32 s1, s2, s5
	s_wait_alu 0xfffe
	s_and_b32 s2, s1, vcc_lo
	s_wait_alu 0xfffe
	s_and_saveexec_b32 s1, s2
	s_cbranch_execz .LBB3_5
; %bb.4:                                ;   in Loop: Header=BB3_3 Depth=1
	global_load_b32 v12, v[3:4], off
	global_load_b32 v16, v[5:6], off
	s_wait_loadcnt 0x0
	v_fma_f32 v12, v12, v16, 0
.LBB3_5:                                ;   in Loop: Header=BB3_3 Depth=1
	s_wait_alu 0xfffe
	s_or_b32 exec_lo, exec_lo, s1
	v_cmp_lt_i32_e64 s1, -2, v15
	v_add_nc_u32_e32 v16, 1, v15
	s_and_b32 s3, s4, s1
	s_delay_alu instid0(VALU_DEP_1)
	v_cmp_gt_i32_e64 s2, s19, v16
	s_wait_alu 0xfffe
	s_and_b32 s3, s3, s11
	s_wait_alu 0xfffe
	s_and_b32 s3, s3, s5
	;; [unrolled: 2-line block ×3, first 2 shown]
	s_delay_alu instid0(SALU_CYCLE_1)
	s_and_saveexec_b32 s3, s7
	s_cbranch_execz .LBB3_7
; %bb.6:                                ;   in Loop: Header=BB3_3 Depth=1
	global_load_b32 v16, v[3:4], off offset:4
	global_load_b32 v17, v[5:6], off offset:4
	s_wait_loadcnt 0x0
	v_fmac_f32_e32 v12, v16, v17
.LBB3_7:                                ;   in Loop: Header=BB3_3 Depth=1
	s_wait_alu 0xfffe
	s_or_b32 exec_lo, exec_lo, s3
	v_cmp_lt_i32_e64 s3, -3, v15
	v_add_nc_u32_e32 v15, 2, v15
	s_and_b32 s7, s4, s3
	s_delay_alu instid0(VALU_DEP_1) | instskip(SKIP_1) | instid1(SALU_CYCLE_1)
	v_cmp_gt_i32_e64 s4, s19, v15
	s_and_b32 s7, s7, s11
	s_and_b32 s7, s7, s5
	s_delay_alu instid0(SALU_CYCLE_1)
	s_and_b32 s9, s7, s4
	s_wait_alu 0xfffe
	s_and_saveexec_b32 s7, s9
	s_cbranch_execz .LBB3_9
; %bb.8:                                ;   in Loop: Header=BB3_3 Depth=1
	global_load_b32 v15, v[3:4], off offset:8
	global_load_b32 v16, v[5:6], off offset:8
	s_wait_loadcnt 0x0
	v_fmac_f32_e32 v12, v15, v16
.LBB3_9:                                ;   in Loop: Header=BB3_3 Depth=1
	s_or_b32 exec_lo, exec_lo, s7
	v_cmp_lt_i32_e64 s9, -2, v14
	v_add_nc_u32_e32 v15, 1, v14
	s_and_b32 s12, s8, s9
	s_delay_alu instid0(VALU_DEP_1)
	v_cmp_gt_i32_e64 s7, s18, v15
	s_wait_alu 0xfffe
	s_and_b32 s10, s12, s0
	s_wait_alu 0xfffe
	s_and_b32 s13, s10, s11
	v_add_co_u32 v5, s10, v5, s54
	s_wait_alu 0xf1ff
	v_add_co_ci_u32_e64 v6, null, s55, v6, s10
	s_wait_alu 0xfffe
	s_and_b32 s10, s13, s7
	s_wait_alu 0xfffe
	s_and_b32 s13, s10, vcc_lo
	s_wait_alu 0xfffe
	s_and_saveexec_b32 s10, s13
	s_cbranch_execz .LBB3_11
; %bb.10:                               ;   in Loop: Header=BB3_3 Depth=1
	global_load_b32 v15, v[3:4], off offset:12
	global_load_b32 v16, v[5:6], off
	s_wait_loadcnt 0x0
	v_fmac_f32_e32 v12, v15, v16
.LBB3_11:                               ;   in Loop: Header=BB3_3 Depth=1
	s_wait_alu 0xfffe
	s_or_b32 exec_lo, exec_lo, s10
	s_and_b32 s10, s12, s1
	s_wait_alu 0xfffe
	s_and_b32 s10, s10, s11
	s_wait_alu 0xfffe
	;; [unrolled: 2-line block ×4, first 2 shown]
	s_and_saveexec_b32 s10, s13
	s_cbranch_execz .LBB3_13
; %bb.12:                               ;   in Loop: Header=BB3_3 Depth=1
	global_load_b32 v15, v[3:4], off offset:16
	global_load_b32 v16, v[5:6], off offset:4
	s_wait_loadcnt 0x0
	v_fmac_f32_e32 v12, v15, v16
.LBB3_13:                               ;   in Loop: Header=BB3_3 Depth=1
	s_wait_alu 0xfffe
	s_or_b32 exec_lo, exec_lo, s10
	s_and_b32 s10, s12, s3
	s_wait_alu 0xfffe
	s_and_b32 s10, s10, s11
	s_wait_alu 0xfffe
	;; [unrolled: 2-line block ×4, first 2 shown]
	s_and_saveexec_b32 s10, s12
	s_cbranch_execz .LBB3_15
; %bb.14:                               ;   in Loop: Header=BB3_3 Depth=1
	global_load_b32 v15, v[3:4], off offset:20
	global_load_b32 v16, v[5:6], off offset:8
	s_wait_loadcnt 0x0
	v_fmac_f32_e32 v12, v15, v16
.LBB3_15:                               ;   in Loop: Header=BB3_3 Depth=1
	s_wait_alu 0xfffe
	s_or_b32 exec_lo, exec_lo, s10
	v_cmp_lt_i32_e64 s10, -3, v14
	v_add_nc_u32_e32 v14, 2, v14
	s_and_b32 s13, s8, s10
	s_delay_alu instid0(VALU_DEP_1)
	v_cmp_gt_i32_e64 s8, s18, v14
	s_wait_alu 0xfffe
	s_and_b32 s12, s13, s0
	s_wait_alu 0xfffe
	s_and_b32 s74, s12, s11
	v_add_co_u32 v5, s12, v5, s54
	s_wait_alu 0xf1ff
	v_add_co_ci_u32_e64 v6, null, s55, v6, s12
	s_and_b32 s12, s74, s8
	s_wait_alu 0xfffe
	s_and_b32 s74, s12, vcc_lo
	s_delay_alu instid0(SALU_CYCLE_1)
	s_and_saveexec_b32 s12, s74
	s_cbranch_execz .LBB3_17
; %bb.16:                               ;   in Loop: Header=BB3_3 Depth=1
	global_load_b32 v14, v[3:4], off offset:24
	global_load_b32 v15, v[5:6], off
	s_wait_loadcnt 0x0
	v_fmac_f32_e32 v12, v14, v15
.LBB3_17:                               ;   in Loop: Header=BB3_3 Depth=1
	s_wait_alu 0xfffe
	s_or_b32 exec_lo, exec_lo, s12
	s_and_b32 s12, s13, s1
	s_wait_alu 0xfffe
	s_and_b32 s12, s12, s11
	s_wait_alu 0xfffe
	;; [unrolled: 2-line block ×3, first 2 shown]
	s_and_b32 s74, s12, s2
	s_delay_alu instid0(SALU_CYCLE_1)
	s_and_saveexec_b32 s12, s74
	s_cbranch_execz .LBB3_19
; %bb.18:                               ;   in Loop: Header=BB3_3 Depth=1
	global_load_b32 v14, v[3:4], off offset:28
	global_load_b32 v15, v[5:6], off offset:4
	s_wait_loadcnt 0x0
	v_fmac_f32_e32 v12, v14, v15
.LBB3_19:                               ;   in Loop: Header=BB3_3 Depth=1
	s_wait_alu 0xfffe
	s_or_b32 exec_lo, exec_lo, s12
	s_and_b32 s12, s13, s3
	s_wait_alu 0xfffe
	s_and_b32 s11, s12, s11
	s_wait_alu 0xfffe
	;; [unrolled: 2-line block ×4, first 2 shown]
	s_and_saveexec_b32 s11, s12
	s_cbranch_execz .LBB3_21
; %bb.20:                               ;   in Loop: Header=BB3_3 Depth=1
	global_load_b32 v14, v[3:4], off offset:32
	global_load_b32 v15, v[5:6], off offset:8
	s_wait_loadcnt 0x0
	v_fmac_f32_e32 v12, v14, v15
.LBB3_21:                               ;   in Loop: Header=BB3_3 Depth=1
	s_wait_alu 0xfffe
	s_or_b32 exec_lo, exec_lo, s11
	v_add_nc_u32_e32 v14, 1, v13
	v_cmp_lt_i32_e64 s12, -2, v13
	v_add_co_u32 v5, s13, v5, s54
	s_wait_alu 0xf1ff
	v_add_co_ci_u32_e64 v6, null, s55, v6, s13
	v_cmp_gt_i32_e64 s11, s17, v14
	s_and_b32 s74, s12, s6
	v_add_co_u32 v5, s13, v5, s56
	s_and_b32 s75, s74, s0
	v_add_co_ci_u32_e64 v6, null, s57, v6, s13
	s_and_b32 s75, s75, s11
	s_delay_alu instid0(SALU_CYCLE_1) | instskip(SKIP_2) | instid1(SALU_CYCLE_1)
	s_and_b32 s13, s75, s5
	s_wait_alu 0xfffe
	s_and_b32 s75, s13, vcc_lo
	s_and_saveexec_b32 s13, s75
	s_cbranch_execz .LBB3_23
; %bb.22:                               ;   in Loop: Header=BB3_3 Depth=1
	global_load_b32 v14, v[3:4], off offset:36
	global_load_b32 v15, v[5:6], off
	s_wait_loadcnt 0x0
	v_fmac_f32_e32 v12, v14, v15
.LBB3_23:                               ;   in Loop: Header=BB3_3 Depth=1
	s_wait_alu 0xfffe
	s_or_b32 exec_lo, exec_lo, s13
	s_and_b32 s13, s74, s1
	s_wait_alu 0xfffe
	s_and_b32 s13, s13, s11
	s_wait_alu 0xfffe
	;; [unrolled: 2-line block ×3, first 2 shown]
	s_and_b32 s75, s13, s2
	s_delay_alu instid0(SALU_CYCLE_1)
	s_and_saveexec_b32 s13, s75
	s_cbranch_execz .LBB3_25
; %bb.24:                               ;   in Loop: Header=BB3_3 Depth=1
	global_load_b32 v14, v[3:4], off offset:40
	global_load_b32 v15, v[5:6], off offset:4
	s_wait_loadcnt 0x0
	v_fmac_f32_e32 v12, v14, v15
.LBB3_25:                               ;   in Loop: Header=BB3_3 Depth=1
	s_wait_alu 0xfffe
	s_or_b32 exec_lo, exec_lo, s13
	s_and_b32 s13, s74, s3
	s_wait_alu 0xfffe
	s_and_b32 s13, s13, s11
	s_wait_alu 0xfffe
	;; [unrolled: 2-line block ×3, first 2 shown]
	s_and_b32 s74, s13, s4
	s_delay_alu instid0(SALU_CYCLE_1)
	s_and_saveexec_b32 s13, s74
	s_cbranch_execz .LBB3_27
; %bb.26:                               ;   in Loop: Header=BB3_3 Depth=1
	global_load_b32 v14, v[3:4], off offset:44
	global_load_b32 v15, v[5:6], off offset:8
	s_wait_loadcnt 0x0
	v_fmac_f32_e32 v12, v14, v15
.LBB3_27:                               ;   in Loop: Header=BB3_3 Depth=1
	s_wait_alu 0xfffe
	s_or_b32 exec_lo, exec_lo, s13
	s_and_b32 s74, s12, s9
	s_delay_alu instid0(SALU_CYCLE_1)
	s_and_b32 s13, s74, s0
	s_wait_alu 0xfffe
	s_and_b32 s75, s13, s11
	v_add_co_u32 v5, s13, v5, s54
	s_wait_alu 0xf1ff
	v_add_co_ci_u32_e64 v6, null, s55, v6, s13
	s_and_b32 s13, s75, s7
	s_wait_alu 0xfffe
	s_and_b32 s75, s13, vcc_lo
	s_delay_alu instid0(SALU_CYCLE_1)
	s_and_saveexec_b32 s13, s75
	s_cbranch_execz .LBB3_29
; %bb.28:                               ;   in Loop: Header=BB3_3 Depth=1
	global_load_b32 v14, v[3:4], off offset:48
	global_load_b32 v15, v[5:6], off
	s_wait_loadcnt 0x0
	v_fmac_f32_e32 v12, v14, v15
.LBB3_29:                               ;   in Loop: Header=BB3_3 Depth=1
	s_wait_alu 0xfffe
	s_or_b32 exec_lo, exec_lo, s13
	s_and_b32 s13, s74, s1
	s_wait_alu 0xfffe
	s_and_b32 s13, s13, s11
	s_wait_alu 0xfffe
	;; [unrolled: 2-line block ×3, first 2 shown]
	s_and_b32 s75, s13, s2
	s_delay_alu instid0(SALU_CYCLE_1)
	s_and_saveexec_b32 s13, s75
	s_cbranch_execz .LBB3_31
; %bb.30:                               ;   in Loop: Header=BB3_3 Depth=1
	global_load_b32 v14, v[3:4], off offset:52
	global_load_b32 v15, v[5:6], off offset:4
	s_wait_loadcnt 0x0
	v_fmac_f32_e32 v12, v14, v15
.LBB3_31:                               ;   in Loop: Header=BB3_3 Depth=1
	s_wait_alu 0xfffe
	s_or_b32 exec_lo, exec_lo, s13
	s_and_b32 s13, s74, s3
	s_wait_alu 0xfffe
	s_and_b32 s13, s13, s11
	s_wait_alu 0xfffe
	;; [unrolled: 2-line block ×3, first 2 shown]
	s_and_b32 s74, s13, s4
	s_delay_alu instid0(SALU_CYCLE_1)
	s_and_saveexec_b32 s13, s74
	s_cbranch_execz .LBB3_33
; %bb.32:                               ;   in Loop: Header=BB3_3 Depth=1
	global_load_b32 v14, v[3:4], off offset:56
	global_load_b32 v15, v[5:6], off offset:8
	s_wait_loadcnt 0x0
	v_fmac_f32_e32 v12, v14, v15
.LBB3_33:                               ;   in Loop: Header=BB3_3 Depth=1
	s_wait_alu 0xfffe
	s_or_b32 exec_lo, exec_lo, s13
	s_and_b32 s13, s12, s10
	s_wait_alu 0xfffe
	s_and_b32 s12, s13, s0
	s_wait_alu 0xfffe
	s_and_b32 s74, s12, s11
	v_add_co_u32 v5, s12, v5, s54
	s_wait_alu 0xf1ff
	v_add_co_ci_u32_e64 v6, null, s55, v6, s12
	s_and_b32 s12, s74, s8
	s_wait_alu 0xfffe
	s_and_b32 s74, s12, vcc_lo
	s_delay_alu instid0(SALU_CYCLE_1)
	s_and_saveexec_b32 s12, s74
	s_cbranch_execz .LBB3_35
; %bb.34:                               ;   in Loop: Header=BB3_3 Depth=1
	global_load_b32 v14, v[3:4], off offset:60
	global_load_b32 v15, v[5:6], off
	s_wait_loadcnt 0x0
	v_fmac_f32_e32 v12, v14, v15
.LBB3_35:                               ;   in Loop: Header=BB3_3 Depth=1
	s_wait_alu 0xfffe
	s_or_b32 exec_lo, exec_lo, s12
	s_and_b32 s12, s13, s1
	s_wait_alu 0xfffe
	s_and_b32 s12, s12, s11
	s_wait_alu 0xfffe
	;; [unrolled: 2-line block ×3, first 2 shown]
	s_and_b32 s74, s12, s2
	s_delay_alu instid0(SALU_CYCLE_1)
	s_and_saveexec_b32 s12, s74
	s_cbranch_execz .LBB3_37
; %bb.36:                               ;   in Loop: Header=BB3_3 Depth=1
	global_load_b32 v14, v[3:4], off offset:64
	global_load_b32 v15, v[5:6], off offset:4
	s_wait_loadcnt 0x0
	v_fmac_f32_e32 v12, v14, v15
.LBB3_37:                               ;   in Loop: Header=BB3_3 Depth=1
	s_wait_alu 0xfffe
	s_or_b32 exec_lo, exec_lo, s12
	s_and_b32 s12, s13, s3
	s_wait_alu 0xfffe
	s_and_b32 s11, s12, s11
	s_wait_alu 0xfffe
	;; [unrolled: 2-line block ×4, first 2 shown]
	s_and_saveexec_b32 s11, s12
	s_cbranch_execz .LBB3_39
; %bb.38:                               ;   in Loop: Header=BB3_3 Depth=1
	global_load_b32 v14, v[3:4], off offset:68
	global_load_b32 v15, v[5:6], off offset:8
	s_wait_loadcnt 0x0
	v_fmac_f32_e32 v12, v14, v15
.LBB3_39:                               ;   in Loop: Header=BB3_3 Depth=1
	s_wait_alu 0xfffe
	s_or_b32 exec_lo, exec_lo, s11
	v_cmp_lt_i32_e64 s11, -3, v13
	v_add_nc_u32_e32 v13, 2, v13
	v_add_co_u32 v5, s12, v5, s54
	s_wait_alu 0xf1ff
	v_add_co_ci_u32_e64 v6, null, s55, v6, s12
	s_and_b32 s13, s11, s6
	v_cmp_gt_i32_e64 s6, s17, v13
	s_wait_alu 0xfffe
	s_and_b32 s74, s13, s0
	v_add_co_u32 v5, s12, v5, s56
	s_wait_alu 0xf1ff
	v_add_co_ci_u32_e64 v6, null, s57, v6, s12
	s_and_b32 s74, s74, s6
	s_delay_alu instid0(SALU_CYCLE_1) | instskip(SKIP_2) | instid1(SALU_CYCLE_1)
	s_and_b32 s12, s74, s5
	s_wait_alu 0xfffe
	s_and_b32 s74, s12, vcc_lo
	s_and_saveexec_b32 s12, s74
	s_cbranch_execz .LBB3_41
; %bb.40:                               ;   in Loop: Header=BB3_3 Depth=1
	global_load_b32 v13, v[3:4], off offset:72
	global_load_b32 v14, v[5:6], off
	s_wait_loadcnt 0x0
	v_fmac_f32_e32 v12, v13, v14
.LBB3_41:                               ;   in Loop: Header=BB3_3 Depth=1
	s_wait_alu 0xfffe
	s_or_b32 exec_lo, exec_lo, s12
	s_and_b32 s12, s13, s1
	s_wait_alu 0xfffe
	s_and_b32 s12, s12, s6
	s_wait_alu 0xfffe
	;; [unrolled: 2-line block ×3, first 2 shown]
	s_and_b32 s74, s12, s2
	s_delay_alu instid0(SALU_CYCLE_1)
	s_and_saveexec_b32 s12, s74
	s_cbranch_execz .LBB3_43
; %bb.42:                               ;   in Loop: Header=BB3_3 Depth=1
	global_load_b32 v13, v[3:4], off offset:76
	global_load_b32 v14, v[5:6], off offset:4
	s_wait_loadcnt 0x0
	v_fmac_f32_e32 v12, v13, v14
.LBB3_43:                               ;   in Loop: Header=BB3_3 Depth=1
	s_wait_alu 0xfffe
	s_or_b32 exec_lo, exec_lo, s12
	s_and_b32 s12, s13, s3
	s_wait_alu 0xfffe
	s_and_b32 s12, s12, s6
	s_wait_alu 0xfffe
	;; [unrolled: 2-line block ×4, first 2 shown]
	s_and_saveexec_b32 s5, s12
	s_cbranch_execz .LBB3_45
; %bb.44:                               ;   in Loop: Header=BB3_3 Depth=1
	global_load_b32 v13, v[3:4], off offset:80
	global_load_b32 v14, v[5:6], off offset:8
	s_wait_loadcnt 0x0
	v_fmac_f32_e32 v12, v13, v14
.LBB3_45:                               ;   in Loop: Header=BB3_3 Depth=1
	s_wait_alu 0xfffe
	s_or_b32 exec_lo, exec_lo, s5
	s_and_b32 s9, s11, s9
	s_wait_alu 0xfffe
	s_and_b32 s5, s9, s0
	s_wait_alu 0xfffe
	s_and_b32 s12, s5, s6
	v_add_co_u32 v5, s5, v5, s54
	s_wait_alu 0xf1ff
	v_add_co_ci_u32_e64 v6, null, s55, v6, s5
	s_wait_alu 0xfffe
	s_and_b32 s5, s12, s7
	s_wait_alu 0xfffe
	s_and_b32 s12, s5, vcc_lo
	s_wait_alu 0xfffe
	s_and_saveexec_b32 s5, s12
	s_cbranch_execz .LBB3_47
; %bb.46:                               ;   in Loop: Header=BB3_3 Depth=1
	global_load_b32 v13, v[3:4], off offset:84
	global_load_b32 v14, v[5:6], off
	s_wait_loadcnt 0x0
	v_fmac_f32_e32 v12, v13, v14
.LBB3_47:                               ;   in Loop: Header=BB3_3 Depth=1
	s_wait_alu 0xfffe
	s_or_b32 exec_lo, exec_lo, s5
	s_and_b32 s5, s9, s1
	s_wait_alu 0xfffe
	s_and_b32 s5, s5, s6
	s_wait_alu 0xfffe
	;; [unrolled: 2-line block ×4, first 2 shown]
	s_and_saveexec_b32 s5, s12
	s_cbranch_execz .LBB3_49
; %bb.48:                               ;   in Loop: Header=BB3_3 Depth=1
	global_load_b32 v13, v[3:4], off offset:88
	global_load_b32 v14, v[5:6], off offset:4
	s_wait_loadcnt 0x0
	v_fmac_f32_e32 v12, v13, v14
.LBB3_49:                               ;   in Loop: Header=BB3_3 Depth=1
	s_wait_alu 0xfffe
	s_or_b32 exec_lo, exec_lo, s5
	s_and_b32 s5, s9, s3
	s_wait_alu 0xfffe
	s_and_b32 s5, s5, s6
	s_wait_alu 0xfffe
	;; [unrolled: 2-line block ×3, first 2 shown]
	s_and_b32 s7, s5, s4
	s_delay_alu instid0(SALU_CYCLE_1)
	s_and_saveexec_b32 s5, s7
	s_cbranch_execz .LBB3_51
; %bb.50:                               ;   in Loop: Header=BB3_3 Depth=1
	global_load_b32 v13, v[3:4], off offset:92
	global_load_b32 v14, v[5:6], off offset:8
	s_wait_loadcnt 0x0
	v_fmac_f32_e32 v12, v13, v14
.LBB3_51:                               ;   in Loop: Header=BB3_3 Depth=1
	s_wait_alu 0xfffe
	s_or_b32 exec_lo, exec_lo, s5
	s_and_b32 s5, s11, s10
	s_wait_alu 0xfffe
	s_and_b32 s0, s5, s0
	s_wait_alu 0xfffe
	s_and_b32 s7, s0, s6
	v_add_co_u32 v5, s0, v5, s54
	s_wait_alu 0xf1ff
	v_add_co_ci_u32_e64 v6, null, s55, v6, s0
	s_and_b32 s0, s7, s8
	s_wait_alu 0xfffe
	s_and_b32 s7, s0, vcc_lo
	s_delay_alu instid0(SALU_CYCLE_1)
	s_and_saveexec_b32 s0, s7
	s_cbranch_execz .LBB3_53
; %bb.52:                               ;   in Loop: Header=BB3_3 Depth=1
	global_load_b32 v13, v[3:4], off offset:96
	global_load_b32 v14, v[5:6], off
	s_wait_loadcnt 0x0
	v_fmac_f32_e32 v12, v13, v14
.LBB3_53:                               ;   in Loop: Header=BB3_3 Depth=1
	s_wait_alu 0xfffe
	s_or_b32 exec_lo, exec_lo, s0
	s_and_b32 s0, s5, s1
	s_wait_alu 0xfffe
	s_and_b32 s0, s0, s6
	s_wait_alu 0xfffe
	;; [unrolled: 2-line block ×4, first 2 shown]
	s_and_saveexec_b32 s0, s1
	s_cbranch_execz .LBB3_55
; %bb.54:                               ;   in Loop: Header=BB3_3 Depth=1
	global_load_b32 v13, v[3:4], off offset:100
	global_load_b32 v14, v[5:6], off offset:4
	s_wait_loadcnt 0x0
	v_fmac_f32_e32 v12, v13, v14
.LBB3_55:                               ;   in Loop: Header=BB3_3 Depth=1
	s_wait_alu 0xfffe
	s_or_b32 exec_lo, exec_lo, s0
	s_and_b32 s0, s5, s3
	s_wait_alu 0xfffe
	s_and_b32 s0, s0, s6
	s_wait_alu 0xfffe
	;; [unrolled: 2-line block ×4, first 2 shown]
	s_and_saveexec_b32 s0, s1
	s_cbranch_execz .LBB3_57
; %bb.56:                               ;   in Loop: Header=BB3_3 Depth=1
	global_load_b32 v3, v[3:4], off offset:104
	global_load_b32 v4, v[5:6], off offset:8
	s_wait_loadcnt 0x0
	v_fmac_f32_e32 v12, v3, v4
.LBB3_57:                               ;   in Loop: Header=BB3_3 Depth=1
	s_wait_alu 0xfffe
	s_or_b32 exec_lo, exec_lo, s0
	s_delay_alu instid0(SALU_CYCLE_1)
	s_and_not1_b32 vcc_lo, exec_lo, s33
	s_wait_alu 0xfffe
	s_cbranch_vccnz .LBB3_2
; %bb.58:                               ;   in Loop: Header=BB3_3 Depth=1
	v_lshlrev_b64_e32 v[2:3], 2, v[1:2]
	s_delay_alu instid0(VALU_DEP_1) | instskip(SKIP_1) | instid1(VALU_DEP_2)
	v_add_co_u32 v2, vcc_lo, s44, v2
	s_wait_alu 0xfffd
	v_add_co_ci_u32_e64 v3, null, s45, v3, vcc_lo
	global_load_b32 v2, v[2:3], off
	s_wait_loadcnt 0x0
	v_add_f32_e32 v12, v12, v2
	s_branch .LBB3_2
.LBB3_59:
	s_endpgm
	.section	.rodata,"a",@progbits
	.p2align	6, 0x0
	.amdhsa_kernel _ZN2at6native12_GLOBAL__N_128conv_depthwise3d_cuda_kernelIffLi3ELi3ELi3ELi1ELi1ELi1EEEvN5torch10headeronly6detail27GenericPackedTensorAccessorINS5_14TensorAccessorIN3c108ArrayRefIlEEKT_Lm4ENS4_16DefaultPtrTraitsEiEENS_6detail16IndexBoundsCheckILm5EiEESC_Lm5ESD_iEENS6_INS7_ISA_SB_Lm4ESD_iEESH_SB_Lm5ESD_iEESI_PSC_iiiiiiiii
		.amdhsa_group_segment_fixed_size 0
		.amdhsa_private_segment_fixed_size 0
		.amdhsa_kernarg_size 448
		.amdhsa_user_sgpr_count 2
		.amdhsa_user_sgpr_dispatch_ptr 0
		.amdhsa_user_sgpr_queue_ptr 0
		.amdhsa_user_sgpr_kernarg_segment_ptr 1
		.amdhsa_user_sgpr_dispatch_id 0
		.amdhsa_user_sgpr_private_segment_size 0
		.amdhsa_wavefront_size32 1
		.amdhsa_uses_dynamic_stack 0
		.amdhsa_enable_private_segment 0
		.amdhsa_system_sgpr_workgroup_id_x 1
		.amdhsa_system_sgpr_workgroup_id_y 0
		.amdhsa_system_sgpr_workgroup_id_z 0
		.amdhsa_system_sgpr_workgroup_info 0
		.amdhsa_system_vgpr_workitem_id 0
		.amdhsa_next_free_vgpr 24
		.amdhsa_next_free_sgpr 76
		.amdhsa_reserve_vcc 1
		.amdhsa_float_round_mode_32 0
		.amdhsa_float_round_mode_16_64 0
		.amdhsa_float_denorm_mode_32 3
		.amdhsa_float_denorm_mode_16_64 3
		.amdhsa_fp16_overflow 0
		.amdhsa_workgroup_processor_mode 1
		.amdhsa_memory_ordered 1
		.amdhsa_forward_progress 1
		.amdhsa_inst_pref_size 36
		.amdhsa_round_robin_scheduling 0
		.amdhsa_exception_fp_ieee_invalid_op 0
		.amdhsa_exception_fp_denorm_src 0
		.amdhsa_exception_fp_ieee_div_zero 0
		.amdhsa_exception_fp_ieee_overflow 0
		.amdhsa_exception_fp_ieee_underflow 0
		.amdhsa_exception_fp_ieee_inexact 0
		.amdhsa_exception_int_div_zero 0
	.end_amdhsa_kernel
	.section	.text._ZN2at6native12_GLOBAL__N_128conv_depthwise3d_cuda_kernelIffLi3ELi3ELi3ELi1ELi1ELi1EEEvN5torch10headeronly6detail27GenericPackedTensorAccessorINS5_14TensorAccessorIN3c108ArrayRefIlEEKT_Lm4ENS4_16DefaultPtrTraitsEiEENS_6detail16IndexBoundsCheckILm5EiEESC_Lm5ESD_iEENS6_INS7_ISA_SB_Lm4ESD_iEESH_SB_Lm5ESD_iEESI_PSC_iiiiiiiii,"axG",@progbits,_ZN2at6native12_GLOBAL__N_128conv_depthwise3d_cuda_kernelIffLi3ELi3ELi3ELi1ELi1ELi1EEEvN5torch10headeronly6detail27GenericPackedTensorAccessorINS5_14TensorAccessorIN3c108ArrayRefIlEEKT_Lm4ENS4_16DefaultPtrTraitsEiEENS_6detail16IndexBoundsCheckILm5EiEESC_Lm5ESD_iEENS6_INS7_ISA_SB_Lm4ESD_iEESH_SB_Lm5ESD_iEESI_PSC_iiiiiiiii,comdat
.Lfunc_end3:
	.size	_ZN2at6native12_GLOBAL__N_128conv_depthwise3d_cuda_kernelIffLi3ELi3ELi3ELi1ELi1ELi1EEEvN5torch10headeronly6detail27GenericPackedTensorAccessorINS5_14TensorAccessorIN3c108ArrayRefIlEEKT_Lm4ENS4_16DefaultPtrTraitsEiEENS_6detail16IndexBoundsCheckILm5EiEESC_Lm5ESD_iEENS6_INS7_ISA_SB_Lm4ESD_iEESH_SB_Lm5ESD_iEESI_PSC_iiiiiiiii, .Lfunc_end3-_ZN2at6native12_GLOBAL__N_128conv_depthwise3d_cuda_kernelIffLi3ELi3ELi3ELi1ELi1ELi1EEEvN5torch10headeronly6detail27GenericPackedTensorAccessorINS5_14TensorAccessorIN3c108ArrayRefIlEEKT_Lm4ENS4_16DefaultPtrTraitsEiEENS_6detail16IndexBoundsCheckILm5EiEESC_Lm5ESD_iEENS6_INS7_ISA_SB_Lm4ESD_iEESH_SB_Lm5ESD_iEESI_PSC_iiiiiiiii
                                        ; -- End function
	.set _ZN2at6native12_GLOBAL__N_128conv_depthwise3d_cuda_kernelIffLi3ELi3ELi3ELi1ELi1ELi1EEEvN5torch10headeronly6detail27GenericPackedTensorAccessorINS5_14TensorAccessorIN3c108ArrayRefIlEEKT_Lm4ENS4_16DefaultPtrTraitsEiEENS_6detail16IndexBoundsCheckILm5EiEESC_Lm5ESD_iEENS6_INS7_ISA_SB_Lm4ESD_iEESH_SB_Lm5ESD_iEESI_PSC_iiiiiiiii.num_vgpr, 24
	.set _ZN2at6native12_GLOBAL__N_128conv_depthwise3d_cuda_kernelIffLi3ELi3ELi3ELi1ELi1ELi1EEEvN5torch10headeronly6detail27GenericPackedTensorAccessorINS5_14TensorAccessorIN3c108ArrayRefIlEEKT_Lm4ENS4_16DefaultPtrTraitsEiEENS_6detail16IndexBoundsCheckILm5EiEESC_Lm5ESD_iEENS6_INS7_ISA_SB_Lm4ESD_iEESH_SB_Lm5ESD_iEESI_PSC_iiiiiiiii.num_agpr, 0
	.set _ZN2at6native12_GLOBAL__N_128conv_depthwise3d_cuda_kernelIffLi3ELi3ELi3ELi1ELi1ELi1EEEvN5torch10headeronly6detail27GenericPackedTensorAccessorINS5_14TensorAccessorIN3c108ArrayRefIlEEKT_Lm4ENS4_16DefaultPtrTraitsEiEENS_6detail16IndexBoundsCheckILm5EiEESC_Lm5ESD_iEENS6_INS7_ISA_SB_Lm4ESD_iEESH_SB_Lm5ESD_iEESI_PSC_iiiiiiiii.numbered_sgpr, 76
	.set _ZN2at6native12_GLOBAL__N_128conv_depthwise3d_cuda_kernelIffLi3ELi3ELi3ELi1ELi1ELi1EEEvN5torch10headeronly6detail27GenericPackedTensorAccessorINS5_14TensorAccessorIN3c108ArrayRefIlEEKT_Lm4ENS4_16DefaultPtrTraitsEiEENS_6detail16IndexBoundsCheckILm5EiEESC_Lm5ESD_iEENS6_INS7_ISA_SB_Lm4ESD_iEESH_SB_Lm5ESD_iEESI_PSC_iiiiiiiii.num_named_barrier, 0
	.set _ZN2at6native12_GLOBAL__N_128conv_depthwise3d_cuda_kernelIffLi3ELi3ELi3ELi1ELi1ELi1EEEvN5torch10headeronly6detail27GenericPackedTensorAccessorINS5_14TensorAccessorIN3c108ArrayRefIlEEKT_Lm4ENS4_16DefaultPtrTraitsEiEENS_6detail16IndexBoundsCheckILm5EiEESC_Lm5ESD_iEENS6_INS7_ISA_SB_Lm4ESD_iEESH_SB_Lm5ESD_iEESI_PSC_iiiiiiiii.private_seg_size, 0
	.set _ZN2at6native12_GLOBAL__N_128conv_depthwise3d_cuda_kernelIffLi3ELi3ELi3ELi1ELi1ELi1EEEvN5torch10headeronly6detail27GenericPackedTensorAccessorINS5_14TensorAccessorIN3c108ArrayRefIlEEKT_Lm4ENS4_16DefaultPtrTraitsEiEENS_6detail16IndexBoundsCheckILm5EiEESC_Lm5ESD_iEENS6_INS7_ISA_SB_Lm4ESD_iEESH_SB_Lm5ESD_iEESI_PSC_iiiiiiiii.uses_vcc, 1
	.set _ZN2at6native12_GLOBAL__N_128conv_depthwise3d_cuda_kernelIffLi3ELi3ELi3ELi1ELi1ELi1EEEvN5torch10headeronly6detail27GenericPackedTensorAccessorINS5_14TensorAccessorIN3c108ArrayRefIlEEKT_Lm4ENS4_16DefaultPtrTraitsEiEENS_6detail16IndexBoundsCheckILm5EiEESC_Lm5ESD_iEENS6_INS7_ISA_SB_Lm4ESD_iEESH_SB_Lm5ESD_iEESI_PSC_iiiiiiiii.uses_flat_scratch, 0
	.set _ZN2at6native12_GLOBAL__N_128conv_depthwise3d_cuda_kernelIffLi3ELi3ELi3ELi1ELi1ELi1EEEvN5torch10headeronly6detail27GenericPackedTensorAccessorINS5_14TensorAccessorIN3c108ArrayRefIlEEKT_Lm4ENS4_16DefaultPtrTraitsEiEENS_6detail16IndexBoundsCheckILm5EiEESC_Lm5ESD_iEENS6_INS7_ISA_SB_Lm4ESD_iEESH_SB_Lm5ESD_iEESI_PSC_iiiiiiiii.has_dyn_sized_stack, 0
	.set _ZN2at6native12_GLOBAL__N_128conv_depthwise3d_cuda_kernelIffLi3ELi3ELi3ELi1ELi1ELi1EEEvN5torch10headeronly6detail27GenericPackedTensorAccessorINS5_14TensorAccessorIN3c108ArrayRefIlEEKT_Lm4ENS4_16DefaultPtrTraitsEiEENS_6detail16IndexBoundsCheckILm5EiEESC_Lm5ESD_iEENS6_INS7_ISA_SB_Lm4ESD_iEESH_SB_Lm5ESD_iEESI_PSC_iiiiiiiii.has_recursion, 0
	.set _ZN2at6native12_GLOBAL__N_128conv_depthwise3d_cuda_kernelIffLi3ELi3ELi3ELi1ELi1ELi1EEEvN5torch10headeronly6detail27GenericPackedTensorAccessorINS5_14TensorAccessorIN3c108ArrayRefIlEEKT_Lm4ENS4_16DefaultPtrTraitsEiEENS_6detail16IndexBoundsCheckILm5EiEESC_Lm5ESD_iEENS6_INS7_ISA_SB_Lm4ESD_iEESH_SB_Lm5ESD_iEESI_PSC_iiiiiiiii.has_indirect_call, 0
	.section	.AMDGPU.csdata,"",@progbits
; Kernel info:
; codeLenInByte = 4504
; TotalNumSgprs: 78
; NumVgprs: 24
; ScratchSize: 0
; MemoryBound: 0
; FloatMode: 240
; IeeeMode: 1
; LDSByteSize: 0 bytes/workgroup (compile time only)
; SGPRBlocks: 0
; VGPRBlocks: 2
; NumSGPRsForWavesPerEU: 78
; NumVGPRsForWavesPerEU: 24
; Occupancy: 16
; WaveLimiterHint : 0
; COMPUTE_PGM_RSRC2:SCRATCH_EN: 0
; COMPUTE_PGM_RSRC2:USER_SGPR: 2
; COMPUTE_PGM_RSRC2:TRAP_HANDLER: 0
; COMPUTE_PGM_RSRC2:TGID_X_EN: 1
; COMPUTE_PGM_RSRC2:TGID_Y_EN: 0
; COMPUTE_PGM_RSRC2:TGID_Z_EN: 0
; COMPUTE_PGM_RSRC2:TIDIG_COMP_CNT: 0
	.section	.text._ZN2at6native12_GLOBAL__N_128conv_depthwise3d_cuda_kernelIffLin1ELin1ELin1ELi1ELi1ELi1EEEvN5torch10headeronly6detail27GenericPackedTensorAccessorINS5_14TensorAccessorIN3c108ArrayRefIlEEKT_Lm4ENS4_16DefaultPtrTraitsEiEENS_6detail16IndexBoundsCheckILm5EiEESC_Lm5ESD_iEENS6_INS7_ISA_SB_Lm4ESD_iEESH_SB_Lm5ESD_iEESI_PSC_iiiiiiiii,"axG",@progbits,_ZN2at6native12_GLOBAL__N_128conv_depthwise3d_cuda_kernelIffLin1ELin1ELin1ELi1ELi1ELi1EEEvN5torch10headeronly6detail27GenericPackedTensorAccessorINS5_14TensorAccessorIN3c108ArrayRefIlEEKT_Lm4ENS4_16DefaultPtrTraitsEiEENS_6detail16IndexBoundsCheckILm5EiEESC_Lm5ESD_iEENS6_INS7_ISA_SB_Lm4ESD_iEESH_SB_Lm5ESD_iEESI_PSC_iiiiiiiii,comdat
	.globl	_ZN2at6native12_GLOBAL__N_128conv_depthwise3d_cuda_kernelIffLin1ELin1ELin1ELi1ELi1ELi1EEEvN5torch10headeronly6detail27GenericPackedTensorAccessorINS5_14TensorAccessorIN3c108ArrayRefIlEEKT_Lm4ENS4_16DefaultPtrTraitsEiEENS_6detail16IndexBoundsCheckILm5EiEESC_Lm5ESD_iEENS6_INS7_ISA_SB_Lm4ESD_iEESH_SB_Lm5ESD_iEESI_PSC_iiiiiiiii ; -- Begin function _ZN2at6native12_GLOBAL__N_128conv_depthwise3d_cuda_kernelIffLin1ELin1ELin1ELi1ELi1ELi1EEEvN5torch10headeronly6detail27GenericPackedTensorAccessorINS5_14TensorAccessorIN3c108ArrayRefIlEEKT_Lm4ENS4_16DefaultPtrTraitsEiEENS_6detail16IndexBoundsCheckILm5EiEESC_Lm5ESD_iEENS6_INS7_ISA_SB_Lm4ESD_iEESH_SB_Lm5ESD_iEESI_PSC_iiiiiiiii
	.p2align	8
	.type	_ZN2at6native12_GLOBAL__N_128conv_depthwise3d_cuda_kernelIffLin1ELin1ELin1ELi1ELi1ELi1EEEvN5torch10headeronly6detail27GenericPackedTensorAccessorINS5_14TensorAccessorIN3c108ArrayRefIlEEKT_Lm4ENS4_16DefaultPtrTraitsEiEENS_6detail16IndexBoundsCheckILm5EiEESC_Lm5ESD_iEENS6_INS7_ISA_SB_Lm4ESD_iEESH_SB_Lm5ESD_iEESI_PSC_iiiiiiiii,@function
_ZN2at6native12_GLOBAL__N_128conv_depthwise3d_cuda_kernelIffLin1ELin1ELin1ELi1ELi1ELi1EEEvN5torch10headeronly6detail27GenericPackedTensorAccessorINS5_14TensorAccessorIN3c108ArrayRefIlEEKT_Lm4ENS4_16DefaultPtrTraitsEiEENS_6detail16IndexBoundsCheckILm5EiEESC_Lm5ESD_iEENS6_INS7_ISA_SB_Lm4ESD_iEESH_SB_Lm5ESD_iEESI_PSC_iiiiiiiii: ; @_ZN2at6native12_GLOBAL__N_128conv_depthwise3d_cuda_kernelIffLin1ELin1ELin1ELi1ELi1ELi1EEEvN5torch10headeronly6detail27GenericPackedTensorAccessorINS5_14TensorAccessorIN3c108ArrayRefIlEEKT_Lm4ENS4_16DefaultPtrTraitsEiEENS_6detail16IndexBoundsCheckILm5EiEESC_Lm5ESD_iEENS6_INS7_ISA_SB_Lm4ESD_iEESH_SB_Lm5ESD_iEESI_PSC_iiiiiiiii
; %bb.0:
	s_clause 0x3
	s_load_b128 s[4:7], s[0:1], 0xc
	s_load_b32 s2, s[0:1], 0xcc
	s_load_b64 s[28:29], s[0:1], 0x48
	s_load_b128 s[8:11], s[0:1], 0x38
	v_mov_b32_e32 v1, 0
	s_wait_kmcnt 0x0
	s_abs_i32 s16, s4
	s_and_b32 s2, s2, 0xffff
	s_cvt_f32_u32 s3, s16
	v_mad_co_u64_u32 v[0:1], null, s2, ttmp9, v[0:1]
	s_mul_i32 s30, s29, s8
	s_delay_alu instid0(SALU_CYCLE_1) | instskip(SKIP_2) | instid1(TRANS32_DEP_1)
	v_rcp_iflag_f32_e32 v2, s3
	s_ashr_i32 s31, s30, 31
	s_mov_b32 s8, exec_lo
	v_readfirstlane_b32 s3, v2
	v_cmpx_gt_i64_e64 s[30:31], v[0:1]
	s_cbranch_execz .LBB4_17
; %bb.1:
	s_mul_f32 s3, s3, 0x4f7ffffe
	s_sub_co_i32 s8, 0, s16
	s_mov_b32 s35, 0
	s_abs_i32 s34, s9
	s_wait_alu 0xfffe
	s_cvt_u32_f32 s3, s3
	s_mov_b32 s13, s35
	s_ashr_i32 s4, s4, 31
	s_add_nc_u64 s[24:25], s[0:1], 0xc0
	s_wait_alu 0xfffe
	s_mul_i32 s8, s8, s3
	s_load_b64 s[36:37], s[0:1], 0x90
	s_mul_hi_u32 s8, s3, s8
	s_delay_alu instid0(SALU_CYCLE_1)
	s_add_co_i32 s12, s3, s8
	s_ashr_i32 s3, s9, 31
	s_mul_u64 s[18:19], s[34:35], s[12:13]
	s_load_b128 s[12:15], s[0:1], 0x70
	s_mul_i32 s8, s19, s16
	s_xor_b32 s4, s3, s4
	s_sub_co_i32 s8, s34, s8
	s_add_co_i32 s17, s19, 1
	s_sub_co_i32 s18, s8, s16
	s_cmp_ge_u32 s8, s16
	s_cselect_b32 s17, s17, s19
	s_cselect_b32 s8, s18, s8
	s_add_co_i32 s18, s17, 1
	s_cmp_ge_u32 s8, s16
	s_cselect_b32 s8, s18, s17
	s_clause 0x1
	s_load_b128 s[16:19], s[0:1], 0x98
	s_load_b64 s[38:39], s[0:1], 0xa8
	s_xor_b32 s8, s8, s4
	s_clause 0x1
	s_load_b64 s[40:41], s[0:1], 0x0
	s_load_b128 s[20:23], s[0:1], 0x1c
	s_sub_co_i32 s64, s8, s4
	s_load_b32 s55, s[24:25], 0x0
	s_cvt_f32_u32 s24, s34
	s_wait_kmcnt 0x0
	s_cmp_gt_i32 s12, 0
	s_clause 0x1
	s_load_b32 s53, s[0:1], 0x2c
	s_load_b64 s[42:43], s[0:1], 0x30
	s_cselect_b32 s4, -1, 0
	s_cmp_gt_i32 s13, 0
	v_rcp_iflag_f32_e32 v2, s24
	s_cselect_b32 s8, -1, 0
	s_cmp_gt_i32 s14, 0
	s_cselect_b32 s33, -1, 0
	s_sub_co_i32 s25, s6, s13
	s_sub_co_i32 s46, s7, s14
	s_wait_alu 0xfffe
	s_mul_i32 s48, s7, s25
	s_ashr_i32 s47, s46, 31
	s_ashr_i32 s49, s48, 31
	s_cmp_lg_u64 s[36:37], 0
	s_cselect_b32 s50, -1, 0
	s_abs_i32 s51, s28
	s_abs_i32 s52, s11
	s_cvt_f32_u32 s24, s51
	s_cvt_f32_u32 s25, s52
	s_abs_i32 s54, s10
	s_abs_i32 s58, s64
	s_wait_alu 0xfffe
	v_rcp_iflag_f32_e32 v3, s24
	v_rcp_iflag_f32_e32 v4, s25
	s_cvt_f32_u32 s56, s54
	s_clause 0x1
	s_load_b64 s[44:45], s[0:1], 0x60
	s_load_b128 s[24:27], s[0:1], 0x50
	v_readfirstlane_b32 s0, v2
	s_mul_i32 s55, s55, s2
	v_rcp_iflag_f32_e32 v2, s56
	s_cvt_f32_u32 s60, s58
	s_sub_co_i32 s59, 0, s51
	s_sub_co_i32 s62, 0, s52
	v_readfirstlane_b32 s1, v3
	v_readfirstlane_b32 s2, v4
	s_mul_f32 s0, s0, 0x4f7ffffe
	s_sub_co_i32 s65, 0, s34
	s_ashr_i32 s56, s28, 31
	s_mul_f32 s1, s1, 0x4f7ffffe
	s_mul_f32 s2, s2, 0x4f7ffffe
	v_readfirstlane_b32 s61, v2
	v_rcp_iflag_f32_e32 v2, s60
	s_wait_alu 0xfffe
	s_cvt_u32_f32 s1, s1
	s_cvt_u32_f32 s2, s2
	;; [unrolled: 1-line block ×3, first 2 shown]
	s_mul_f32 s61, s61, 0x4f7ffffe
	s_wait_alu 0xfffe
	s_mul_i32 s59, s59, s1
	s_mul_i32 s62, s62, s2
	s_mul_hi_u32 s59, s1, s59
	s_mul_hi_u32 s60, s2, s62
	s_add_co_i32 s59, s1, s59
	v_readfirstlane_b32 s62, v2
	s_cvt_u32_f32 s1, s61
	s_wait_alu 0xfffe
	s_add_co_i32 s60, s2, s60
	s_sub_co_i32 s2, 0, s54
	s_mul_i32 s65, s65, s0
	s_wait_alu 0xfffe
	s_mul_i32 s2, s2, s1
	s_mul_f32 s63, s62, 0x4f7ffffe
	s_wait_alu 0xfffe
	s_mul_hi_u32 s2, s1, s2
	s_ashr_i32 s57, s11, 31
	s_wait_alu 0xfffe
	s_add_co_i32 s62, s1, s2
	s_cvt_u32_f32 s1, s63
	s_mul_hi_u32 s2, s0, s65
	s_sub_co_i32 s65, 0, s58
	s_wait_alu 0xfffe
	s_add_co_i32 s63, s0, s2
	s_mul_i32 s65, s65, s1
	s_ashr_i32 s61, s10, 31
	s_mul_hi_u32 s0, s1, s65
	s_ashr_i32 s64, s64, 31
	s_wait_alu 0xfffe
	s_add_co_i32 s65, s1, s0
	s_lshl_b64 s[46:47], s[46:47], 2
	s_lshl_b64 s[48:49], s[48:49], 2
	s_branch .LBB4_3
.LBB4_2:                                ;   in Loop: Header=BB4_3 Depth=1
	v_mul_lo_u32 v3, v11, s29
	s_wait_kmcnt 0x0
	v_mul_lo_u32 v5, s24, v2
	v_mul_lo_u32 v2, s25, v10
	;; [unrolled: 1-line block ×3, first 2 shown]
	v_add_co_u32 v0, vcc_lo, v0, s55
	s_wait_alu 0xfffd
	v_add_co_ci_u32_e64 v1, null, 0, v1, vcc_lo
	v_ashrrev_i32_e32 v4, 31, v3
	v_ashrrev_i32_e32 v6, 31, v5
	v_mul_lo_u32 v9, s27, v8
	v_ashrrev_i32_e32 v8, 31, v7
	s_delay_alu instid0(VALU_DEP_4) | instskip(SKIP_3) | instid1(VALU_DEP_4)
	v_lshlrev_b64_e32 v[13:14], 2, v[3:4]
	v_ashrrev_i32_e32 v3, 31, v2
	v_lshlrev_b64_e32 v[4:5], 2, v[5:6]
	v_ashrrev_i32_e32 v10, 31, v9
	v_add_co_u32 v6, vcc_lo, s42, v13
	s_wait_alu 0xfffd
	v_add_co_ci_u32_e64 v11, null, s43, v14, vcc_lo
	v_lshlrev_b64_e32 v[2:3], 2, v[2:3]
	s_delay_alu instid0(VALU_DEP_3) | instskip(SKIP_1) | instid1(VALU_DEP_3)
	v_add_co_u32 v6, vcc_lo, v6, v4
	s_wait_alu 0xfffd
	v_add_co_ci_u32_e64 v11, null, v11, v5, vcc_lo
	v_lshlrev_b64_e32 v[4:5], 2, v[7:8]
	s_delay_alu instid0(VALU_DEP_3) | instskip(SKIP_1) | instid1(VALU_DEP_3)
	;; [unrolled: 5-line block ×3, first 2 shown]
	v_add_co_u32 v4, vcc_lo, v6, v4
	s_wait_alu 0xfffd
	v_add_co_ci_u32_e64 v5, null, v7, v5, vcc_lo
	v_cmp_le_i64_e32 vcc_lo, s[30:31], v[0:1]
	s_delay_alu instid0(VALU_DEP_3) | instskip(SKIP_1) | instid1(VALU_DEP_3)
	v_add_co_u32 v2, s0, v4, v2
	s_wait_alu 0xf1ff
	v_add_co_ci_u32_e64 v3, null, v5, v3, s0
	s_or_b32 s35, vcc_lo, s35
	global_store_b32 v[2:3], v12, off
	s_wait_alu 0xfffe
	s_and_not1_b32 exec_lo, exec_lo, s35
	s_cbranch_execz .LBB4_17
.LBB4_3:                                ; =>This Loop Header: Depth=1
                                        ;     Child Loop BB4_6 Depth 2
                                        ;       Child Loop BB4_9 Depth 3
                                        ;         Child Loop BB4_12 Depth 4
	v_sub_nc_u32_e32 v2, 0, v0
	s_delay_alu instid0(VALU_DEP_1) | instskip(NEXT) | instid1(VALU_DEP_1)
	v_max_i32_e32 v2, v0, v2
	v_mul_hi_u32 v3, v2, s59
	s_delay_alu instid0(VALU_DEP_1) | instskip(NEXT) | instid1(VALU_DEP_1)
	v_mul_lo_u32 v4, v3, s51
	v_sub_nc_u32_e32 v2, v2, v4
	v_add_nc_u32_e32 v4, 1, v3
	s_delay_alu instid0(VALU_DEP_2) | instskip(SKIP_2) | instid1(VALU_DEP_2)
	v_subrev_nc_u32_e32 v5, s51, v2
	v_cmp_le_u32_e32 vcc_lo, s51, v2
	s_wait_alu 0xfffd
	v_dual_cndmask_b32 v3, v3, v4 :: v_dual_cndmask_b32 v2, v2, v5
	v_ashrrev_i32_e32 v4, 31, v0
	s_delay_alu instid0(VALU_DEP_2) | instskip(NEXT) | instid1(VALU_DEP_3)
	v_add_nc_u32_e32 v5, 1, v3
	v_cmp_le_u32_e32 vcc_lo, s51, v2
	s_delay_alu instid0(VALU_DEP_3) | instskip(SKIP_1) | instid1(VALU_DEP_3)
	v_xor_b32_e32 v4, s56, v4
	s_wait_alu 0xfffd
	v_cndmask_b32_e32 v2, v3, v5, vcc_lo
	s_delay_alu instid0(VALU_DEP_1) | instskip(NEXT) | instid1(VALU_DEP_1)
	v_xor_b32_e32 v2, v2, v4
	v_sub_nc_u32_e32 v3, v2, v4
	s_delay_alu instid0(VALU_DEP_1) | instskip(NEXT) | instid1(VALU_DEP_1)
	v_sub_nc_u32_e32 v2, 0, v3
	v_max_i32_e32 v2, v3, v2
	s_delay_alu instid0(VALU_DEP_1) | instskip(NEXT) | instid1(VALU_DEP_1)
	v_mul_hi_u32 v4, v2, s60
	v_mul_lo_u32 v5, v4, s52
	s_delay_alu instid0(VALU_DEP_1) | instskip(SKIP_1) | instid1(VALU_DEP_2)
	v_sub_nc_u32_e32 v2, v2, v5
	v_add_nc_u32_e32 v5, 1, v4
	v_subrev_nc_u32_e32 v6, s52, v2
	v_cmp_le_u32_e32 vcc_lo, s52, v2
	s_wait_alu 0xfffd
	s_delay_alu instid0(VALU_DEP_3) | instskip(NEXT) | instid1(VALU_DEP_3)
	v_cndmask_b32_e32 v4, v4, v5, vcc_lo
	v_cndmask_b32_e32 v2, v2, v6, vcc_lo
	v_ashrrev_i32_e32 v5, 31, v3
	s_delay_alu instid0(VALU_DEP_3) | instskip(NEXT) | instid1(VALU_DEP_3)
	v_add_nc_u32_e32 v6, 1, v4
	v_cmp_le_u32_e32 vcc_lo, s52, v2
	s_delay_alu instid0(VALU_DEP_3) | instskip(SKIP_1) | instid1(VALU_DEP_3)
	v_xor_b32_e32 v5, s57, v5
	s_wait_alu 0xfffd
	v_cndmask_b32_e32 v2, v4, v6, vcc_lo
	s_delay_alu instid0(VALU_DEP_1) | instskip(NEXT) | instid1(VALU_DEP_1)
	v_xor_b32_e32 v2, v2, v5
	v_sub_nc_u32_e32 v4, v2, v5
	s_delay_alu instid0(VALU_DEP_1) | instskip(NEXT) | instid1(VALU_DEP_1)
	v_sub_nc_u32_e32 v2, 0, v4
	v_max_i32_e32 v2, v4, v2
	s_delay_alu instid0(VALU_DEP_1) | instskip(NEXT) | instid1(VALU_DEP_1)
	v_mul_hi_u32 v5, v2, s62
	v_mul_lo_u32 v6, v5, s54
	s_delay_alu instid0(VALU_DEP_1) | instskip(SKIP_1) | instid1(VALU_DEP_2)
	v_sub_nc_u32_e32 v2, v2, v6
	v_add_nc_u32_e32 v6, 1, v5
	v_subrev_nc_u32_e32 v7, s54, v2
	v_cmp_le_u32_e32 vcc_lo, s54, v2
	s_wait_alu 0xfffd
	s_delay_alu instid0(VALU_DEP_2) | instskip(SKIP_1) | instid1(VALU_DEP_2)
	v_dual_cndmask_b32 v5, v5, v6 :: v_dual_cndmask_b32 v2, v2, v7
	v_ashrrev_i32_e32 v6, 31, v4
	v_add_nc_u32_e32 v7, 1, v5
	s_delay_alu instid0(VALU_DEP_3) | instskip(NEXT) | instid1(VALU_DEP_3)
	v_cmp_le_u32_e32 vcc_lo, s54, v2
	v_xor_b32_e32 v6, s61, v6
	s_wait_alu 0xfffd
	s_delay_alu instid0(VALU_DEP_3) | instskip(NEXT) | instid1(VALU_DEP_1)
	v_cndmask_b32_e32 v2, v5, v7, vcc_lo
	v_xor_b32_e32 v2, v2, v6
	s_delay_alu instid0(VALU_DEP_1) | instskip(NEXT) | instid1(VALU_DEP_1)
	v_sub_nc_u32_e32 v2, v2, v6
	v_sub_nc_u32_e32 v5, 0, v2
	v_mul_lo_u32 v10, v2, s10
	s_delay_alu instid0(VALU_DEP_2) | instskip(NEXT) | instid1(VALU_DEP_2)
	v_max_i32_e32 v5, v2, v5
	v_sub_nc_u32_e32 v10, v4, v10
	s_delay_alu instid0(VALU_DEP_2) | instskip(NEXT) | instid1(VALU_DEP_1)
	v_mul_hi_u32 v6, v5, s63
	v_mul_lo_u32 v7, v6, s34
	s_delay_alu instid0(VALU_DEP_1) | instskip(SKIP_1) | instid1(VALU_DEP_2)
	v_sub_nc_u32_e32 v5, v5, v7
	v_add_nc_u32_e32 v7, 1, v6
	v_subrev_nc_u32_e32 v8, s34, v5
	v_cmp_le_u32_e32 vcc_lo, s34, v5
	s_wait_alu 0xfffd
	s_delay_alu instid0(VALU_DEP_2) | instskip(SKIP_1) | instid1(VALU_DEP_2)
	v_dual_cndmask_b32 v6, v6, v7 :: v_dual_cndmask_b32 v5, v5, v8
	v_ashrrev_i32_e32 v7, 31, v2
	v_add_nc_u32_e32 v8, 1, v6
	s_delay_alu instid0(VALU_DEP_3) | instskip(NEXT) | instid1(VALU_DEP_3)
	v_cmp_le_u32_e32 vcc_lo, s34, v5
	v_xor_b32_e32 v7, s3, v7
	s_wait_alu 0xfffd
	s_delay_alu instid0(VALU_DEP_3) | instskip(SKIP_2) | instid1(VALU_DEP_2)
	v_cndmask_b32_e32 v5, v6, v8, vcc_lo
	v_mul_lo_u32 v6, v3, s28
	s_and_not1_b32 vcc_lo, exec_lo, s4
	v_xor_b32_e32 v5, v5, v7
	s_delay_alu instid0(VALU_DEP_2) | instskip(NEXT) | instid1(VALU_DEP_2)
	v_sub_nc_u32_e32 v8, v0, v6
	v_sub_nc_u32_e32 v11, v5, v7
	v_mul_lo_u32 v7, v4, s11
	s_delay_alu instid0(VALU_DEP_2) | instskip(NEXT) | instid1(VALU_DEP_2)
	v_mul_lo_u32 v5, v11, s9
	v_sub_nc_u32_e32 v9, v3, v7
	s_delay_alu instid0(VALU_DEP_2) | instskip(NEXT) | instid1(VALU_DEP_1)
	v_sub_nc_u32_e32 v2, v2, v5
	v_ashrrev_i32_e32 v3, 31, v2
	s_wait_alu 0xfffe
	s_cbranch_vccnz .LBB4_14
; %bb.4:                                ;   in Loop: Header=BB4_3 Depth=1
	v_sub_nc_u32_e32 v4, 0, v2
	v_mul_lo_u32 v12, v10, s16
	v_mul_lo_u32 v14, v9, s17
	s_mov_b32 s66, 0
	s_delay_alu instid0(VALU_DEP_3) | instskip(NEXT) | instid1(VALU_DEP_3)
	v_max_i32_e32 v4, v2, v4
	v_subrev_nc_u32_e32 v13, s19, v12
	s_delay_alu instid0(VALU_DEP_2) | instskip(NEXT) | instid1(VALU_DEP_4)
	v_mul_hi_u32 v5, v4, s65
	v_subrev_nc_u32_e32 v14, s38, v14
	s_delay_alu instid0(VALU_DEP_3) | instskip(NEXT) | instid1(VALU_DEP_2)
	v_mul_lo_u32 v18, s22, v13
	v_mul_lo_u32 v20, s23, v14
	s_delay_alu instid0(VALU_DEP_4) | instskip(NEXT) | instid1(VALU_DEP_3)
	v_mul_lo_u32 v6, v5, s58
	v_ashrrev_i32_e32 v19, 31, v18
	s_delay_alu instid0(VALU_DEP_3) | instskip(NEXT) | instid1(VALU_DEP_3)
	v_ashrrev_i32_e32 v21, 31, v20
	v_sub_nc_u32_e32 v4, v4, v6
	v_add_nc_u32_e32 v6, 1, v5
	s_delay_alu instid0(VALU_DEP_2) | instskip(SKIP_2) | instid1(VALU_DEP_2)
	v_subrev_nc_u32_e32 v7, s58, v4
	v_cmp_le_u32_e32 vcc_lo, s58, v4
	s_wait_alu 0xfffd
	v_dual_cndmask_b32 v5, v5, v6 :: v_dual_cndmask_b32 v4, v4, v7
	v_xor_b32_e32 v7, s64, v3
	s_delay_alu instid0(VALU_DEP_2) | instskip(NEXT) | instid1(VALU_DEP_3)
	v_add_nc_u32_e32 v6, 1, v5
	v_cmp_le_u32_e32 vcc_lo, s58, v4
	s_wait_alu 0xfffd
	s_delay_alu instid0(VALU_DEP_2) | instskip(SKIP_1) | instid1(VALU_DEP_2)
	v_cndmask_b32_e32 v4, v5, v6, vcc_lo
	v_mul_lo_u32 v6, s15, v2
	v_xor_b32_e32 v5, v4, v7
	v_mul_lo_u32 v4, s20, v11
	s_delay_alu instid0(VALU_DEP_2) | instskip(SKIP_1) | instid1(VALU_DEP_2)
	v_sub_nc_u32_e32 v5, v5, v7
	v_mul_lo_u32 v7, v8, s18
	v_mul_lo_u32 v16, s21, v5
	s_delay_alu instid0(VALU_DEP_4) | instskip(NEXT) | instid1(VALU_DEP_3)
	v_ashrrev_i32_e32 v5, 31, v4
	v_subrev_nc_u32_e32 v15, s39, v7
	v_ashrrev_i32_e32 v7, 31, v6
	s_delay_alu instid0(VALU_DEP_3) | instskip(SKIP_4) | instid1(VALU_DEP_4)
	v_lshlrev_b64_e32 v[4:5], 2, v[4:5]
	v_ashrrev_i32_e32 v17, 31, v16
	s_wait_kmcnt 0x0
	v_mul_lo_u32 v22, s53, v15
	v_lshlrev_b64_e32 v[6:7], 2, v[6:7]
	v_add_co_u32 v12, vcc_lo, s40, v4
	v_lshlrev_b64_e32 v[16:17], 2, v[16:17]
	s_wait_alu 0xfffd
	v_add_co_ci_u32_e64 v24, null, s41, v5, vcc_lo
	v_lshlrev_b64_e32 v[4:5], 2, v[18:19]
	v_ashrrev_i32_e32 v23, 31, v22
	s_delay_alu instid0(VALU_DEP_4) | instskip(SKIP_3) | instid1(VALU_DEP_3)
	v_add_co_u32 v12, vcc_lo, v12, v16
	s_wait_alu 0xfffd
	v_add_co_ci_u32_e64 v18, null, v24, v17, vcc_lo
	v_lshlrev_b64_e32 v[16:17], 2, v[20:21]
	v_add_co_u32 v4, vcc_lo, v12, v4
	s_wait_alu 0xfffd
	s_delay_alu instid0(VALU_DEP_3) | instskip(SKIP_1) | instid1(VALU_DEP_3)
	v_add_co_ci_u32_e64 v5, null, v18, v5, vcc_lo
	v_lshlrev_b64_e32 v[18:19], 2, v[22:23]
	v_add_co_u32 v12, vcc_lo, v4, v16
	s_wait_alu 0xfffd
	s_delay_alu instid0(VALU_DEP_3)
	v_add_co_ci_u32_e64 v16, null, v5, v17, vcc_lo
	v_add_co_u32 v4, vcc_lo, s44, v6
	s_wait_alu 0xfffd
	v_add_co_ci_u32_e64 v5, null, s45, v7, vcc_lo
	v_add_co_u32 v6, vcc_lo, v12, v18
	s_wait_alu 0xfffd
	v_add_co_ci_u32_e64 v7, null, v16, v19, vcc_lo
	v_mov_b32_e32 v12, 0
	s_branch .LBB4_6
.LBB4_5:                                ;   in Loop: Header=BB4_6 Depth=2
	v_add_co_u32 v6, vcc_lo, v6, s48
	s_wait_alu 0xfffd
	v_add_co_ci_u32_e64 v7, null, s49, v7, vcc_lo
	s_add_co_i32 s66, s66, 1
	s_wait_alu 0xfffe
	s_cmp_eq_u32 s66, s12
	s_cbranch_scc1 .LBB4_15
.LBB4_6:                                ;   Parent Loop BB4_3 Depth=1
                                        ; =>  This Loop Header: Depth=2
                                        ;       Child Loop BB4_9 Depth 3
                                        ;         Child Loop BB4_12 Depth 4
	s_and_not1_b32 vcc_lo, exec_lo, s8
	s_wait_alu 0xfffe
	s_cbranch_vccnz .LBB4_5
; %bb.7:                                ;   in Loop: Header=BB4_6 Depth=2
	v_add_nc_u32_e32 v16, s66, v13
	s_mov_b32 s67, 0
	s_delay_alu instid0(VALU_DEP_1)
	v_cmp_lt_i32_e64 s0, -1, v16
	v_cmp_gt_i32_e64 s1, s5, v16
	s_branch .LBB4_9
.LBB4_8:                                ;   in Loop: Header=BB4_9 Depth=3
	v_add_co_u32 v6, vcc_lo, v6, s46
	s_wait_alu 0xfffd
	v_add_co_ci_u32_e64 v7, null, s47, v7, vcc_lo
	s_add_co_i32 s67, s67, 1
	s_wait_alu 0xfffe
	s_cmp_eq_u32 s67, s13
	s_cbranch_scc1 .LBB4_5
.LBB4_9:                                ;   Parent Loop BB4_3 Depth=1
                                        ;     Parent Loop BB4_6 Depth=2
                                        ; =>    This Loop Header: Depth=3
                                        ;         Child Loop BB4_12 Depth 4
	s_and_not1_b32 vcc_lo, exec_lo, s33
	s_wait_alu 0xfffe
	s_cbranch_vccnz .LBB4_8
; %bb.10:                               ;   in Loop: Header=BB4_9 Depth=3
	v_dual_mov_b32 v16, v15 :: v_dual_add_nc_u32 v17, s67, v14
	s_mov_b32 s69, s14
	s_delay_alu instid0(VALU_DEP_1)
	v_cmp_lt_i32_e64 s2, -1, v17
	v_cmp_gt_i32_e32 vcc_lo, s6, v17
	s_and_b32 s68, s0, s2
	s_branch .LBB4_12
.LBB4_11:                               ;   in Loop: Header=BB4_12 Depth=4
	s_wait_alu 0xfffe
	s_or_b32 exec_lo, exec_lo, s2
	v_add_co_u32 v4, s2, v4, 4
	s_wait_alu 0xf1ff
	v_add_co_ci_u32_e64 v5, null, 0, v5, s2
	v_add_co_u32 v6, s2, v6, 4
	s_wait_alu 0xf1ff
	v_add_co_ci_u32_e64 v7, null, 0, v7, s2
	v_add_nc_u32_e32 v16, 1, v16
	s_add_co_i32 s69, s69, -1
	s_delay_alu instid0(SALU_CYCLE_1)
	s_cmp_eq_u32 s69, 0
	s_cbranch_scc1 .LBB4_8
.LBB4_12:                               ;   Parent Loop BB4_3 Depth=1
                                        ;     Parent Loop BB4_6 Depth=2
                                        ;       Parent Loop BB4_9 Depth=3
                                        ; =>      This Inner Loop Header: Depth=4
	s_delay_alu instid0(VALU_DEP_1) | instskip(SKIP_3) | instid1(SALU_CYCLE_1)
	v_cmp_lt_i32_e64 s2, -1, v16
	s_and_b32 s70, s68, s2
	v_cmp_gt_i32_e64 s2, s7, v16
	s_and_b32 s70, s70, s1
	s_and_b32 s70, s70, vcc_lo
	s_delay_alu instid0(SALU_CYCLE_1) | instskip(NEXT) | instid1(SALU_CYCLE_1)
	s_and_b32 s70, s70, s2
	s_and_saveexec_b32 s2, s70
	s_cbranch_execz .LBB4_11
; %bb.13:                               ;   in Loop: Header=BB4_12 Depth=4
	global_load_b32 v17, v[4:5], off
	global_load_b32 v18, v[6:7], off
	s_wait_loadcnt 0x0
	v_fmac_f32_e32 v12, v17, v18
	s_branch .LBB4_11
.LBB4_14:                               ;   in Loop: Header=BB4_3 Depth=1
	v_mov_b32_e32 v12, 0
.LBB4_15:                               ;   in Loop: Header=BB4_3 Depth=1
	s_and_b32 vcc_lo, exec_lo, s50
	s_wait_alu 0xfffe
	s_cbranch_vccz .LBB4_2
; %bb.16:                               ;   in Loop: Header=BB4_3 Depth=1
	v_lshlrev_b64_e32 v[3:4], 2, v[2:3]
	s_delay_alu instid0(VALU_DEP_1) | instskip(SKIP_1) | instid1(VALU_DEP_2)
	v_add_co_u32 v3, vcc_lo, s36, v3
	s_wait_alu 0xfffd
	v_add_co_ci_u32_e64 v4, null, s37, v4, vcc_lo
	global_load_b32 v3, v[3:4], off
	s_wait_loadcnt 0x0
	v_add_f32_e32 v12, v12, v3
	s_branch .LBB4_2
.LBB4_17:
	s_endpgm
	.section	.rodata,"a",@progbits
	.p2align	6, 0x0
	.amdhsa_kernel _ZN2at6native12_GLOBAL__N_128conv_depthwise3d_cuda_kernelIffLin1ELin1ELin1ELi1ELi1ELi1EEEvN5torch10headeronly6detail27GenericPackedTensorAccessorINS5_14TensorAccessorIN3c108ArrayRefIlEEKT_Lm4ENS4_16DefaultPtrTraitsEiEENS_6detail16IndexBoundsCheckILm5EiEESC_Lm5ESD_iEENS6_INS7_ISA_SB_Lm4ESD_iEESH_SB_Lm5ESD_iEESI_PSC_iiiiiiiii
		.amdhsa_group_segment_fixed_size 0
		.amdhsa_private_segment_fixed_size 0
		.amdhsa_kernarg_size 448
		.amdhsa_user_sgpr_count 2
		.amdhsa_user_sgpr_dispatch_ptr 0
		.amdhsa_user_sgpr_queue_ptr 0
		.amdhsa_user_sgpr_kernarg_segment_ptr 1
		.amdhsa_user_sgpr_dispatch_id 0
		.amdhsa_user_sgpr_private_segment_size 0
		.amdhsa_wavefront_size32 1
		.amdhsa_uses_dynamic_stack 0
		.amdhsa_enable_private_segment 0
		.amdhsa_system_sgpr_workgroup_id_x 1
		.amdhsa_system_sgpr_workgroup_id_y 0
		.amdhsa_system_sgpr_workgroup_id_z 0
		.amdhsa_system_sgpr_workgroup_info 0
		.amdhsa_system_vgpr_workitem_id 0
		.amdhsa_next_free_vgpr 25
		.amdhsa_next_free_sgpr 71
		.amdhsa_reserve_vcc 1
		.amdhsa_float_round_mode_32 0
		.amdhsa_float_round_mode_16_64 0
		.amdhsa_float_denorm_mode_32 3
		.amdhsa_float_denorm_mode_16_64 3
		.amdhsa_fp16_overflow 0
		.amdhsa_workgroup_processor_mode 1
		.amdhsa_memory_ordered 1
		.amdhsa_forward_progress 1
		.amdhsa_inst_pref_size 18
		.amdhsa_round_robin_scheduling 0
		.amdhsa_exception_fp_ieee_invalid_op 0
		.amdhsa_exception_fp_denorm_src 0
		.amdhsa_exception_fp_ieee_div_zero 0
		.amdhsa_exception_fp_ieee_overflow 0
		.amdhsa_exception_fp_ieee_underflow 0
		.amdhsa_exception_fp_ieee_inexact 0
		.amdhsa_exception_int_div_zero 0
	.end_amdhsa_kernel
	.section	.text._ZN2at6native12_GLOBAL__N_128conv_depthwise3d_cuda_kernelIffLin1ELin1ELin1ELi1ELi1ELi1EEEvN5torch10headeronly6detail27GenericPackedTensorAccessorINS5_14TensorAccessorIN3c108ArrayRefIlEEKT_Lm4ENS4_16DefaultPtrTraitsEiEENS_6detail16IndexBoundsCheckILm5EiEESC_Lm5ESD_iEENS6_INS7_ISA_SB_Lm4ESD_iEESH_SB_Lm5ESD_iEESI_PSC_iiiiiiiii,"axG",@progbits,_ZN2at6native12_GLOBAL__N_128conv_depthwise3d_cuda_kernelIffLin1ELin1ELin1ELi1ELi1ELi1EEEvN5torch10headeronly6detail27GenericPackedTensorAccessorINS5_14TensorAccessorIN3c108ArrayRefIlEEKT_Lm4ENS4_16DefaultPtrTraitsEiEENS_6detail16IndexBoundsCheckILm5EiEESC_Lm5ESD_iEENS6_INS7_ISA_SB_Lm4ESD_iEESH_SB_Lm5ESD_iEESI_PSC_iiiiiiiii,comdat
.Lfunc_end4:
	.size	_ZN2at6native12_GLOBAL__N_128conv_depthwise3d_cuda_kernelIffLin1ELin1ELin1ELi1ELi1ELi1EEEvN5torch10headeronly6detail27GenericPackedTensorAccessorINS5_14TensorAccessorIN3c108ArrayRefIlEEKT_Lm4ENS4_16DefaultPtrTraitsEiEENS_6detail16IndexBoundsCheckILm5EiEESC_Lm5ESD_iEENS6_INS7_ISA_SB_Lm4ESD_iEESH_SB_Lm5ESD_iEESI_PSC_iiiiiiiii, .Lfunc_end4-_ZN2at6native12_GLOBAL__N_128conv_depthwise3d_cuda_kernelIffLin1ELin1ELin1ELi1ELi1ELi1EEEvN5torch10headeronly6detail27GenericPackedTensorAccessorINS5_14TensorAccessorIN3c108ArrayRefIlEEKT_Lm4ENS4_16DefaultPtrTraitsEiEENS_6detail16IndexBoundsCheckILm5EiEESC_Lm5ESD_iEENS6_INS7_ISA_SB_Lm4ESD_iEESH_SB_Lm5ESD_iEESI_PSC_iiiiiiiii
                                        ; -- End function
	.set _ZN2at6native12_GLOBAL__N_128conv_depthwise3d_cuda_kernelIffLin1ELin1ELin1ELi1ELi1ELi1EEEvN5torch10headeronly6detail27GenericPackedTensorAccessorINS5_14TensorAccessorIN3c108ArrayRefIlEEKT_Lm4ENS4_16DefaultPtrTraitsEiEENS_6detail16IndexBoundsCheckILm5EiEESC_Lm5ESD_iEENS6_INS7_ISA_SB_Lm4ESD_iEESH_SB_Lm5ESD_iEESI_PSC_iiiiiiiii.num_vgpr, 25
	.set _ZN2at6native12_GLOBAL__N_128conv_depthwise3d_cuda_kernelIffLin1ELin1ELin1ELi1ELi1ELi1EEEvN5torch10headeronly6detail27GenericPackedTensorAccessorINS5_14TensorAccessorIN3c108ArrayRefIlEEKT_Lm4ENS4_16DefaultPtrTraitsEiEENS_6detail16IndexBoundsCheckILm5EiEESC_Lm5ESD_iEENS6_INS7_ISA_SB_Lm4ESD_iEESH_SB_Lm5ESD_iEESI_PSC_iiiiiiiii.num_agpr, 0
	.set _ZN2at6native12_GLOBAL__N_128conv_depthwise3d_cuda_kernelIffLin1ELin1ELin1ELi1ELi1ELi1EEEvN5torch10headeronly6detail27GenericPackedTensorAccessorINS5_14TensorAccessorIN3c108ArrayRefIlEEKT_Lm4ENS4_16DefaultPtrTraitsEiEENS_6detail16IndexBoundsCheckILm5EiEESC_Lm5ESD_iEENS6_INS7_ISA_SB_Lm4ESD_iEESH_SB_Lm5ESD_iEESI_PSC_iiiiiiiii.numbered_sgpr, 71
	.set _ZN2at6native12_GLOBAL__N_128conv_depthwise3d_cuda_kernelIffLin1ELin1ELin1ELi1ELi1ELi1EEEvN5torch10headeronly6detail27GenericPackedTensorAccessorINS5_14TensorAccessorIN3c108ArrayRefIlEEKT_Lm4ENS4_16DefaultPtrTraitsEiEENS_6detail16IndexBoundsCheckILm5EiEESC_Lm5ESD_iEENS6_INS7_ISA_SB_Lm4ESD_iEESH_SB_Lm5ESD_iEESI_PSC_iiiiiiiii.num_named_barrier, 0
	.set _ZN2at6native12_GLOBAL__N_128conv_depthwise3d_cuda_kernelIffLin1ELin1ELin1ELi1ELi1ELi1EEEvN5torch10headeronly6detail27GenericPackedTensorAccessorINS5_14TensorAccessorIN3c108ArrayRefIlEEKT_Lm4ENS4_16DefaultPtrTraitsEiEENS_6detail16IndexBoundsCheckILm5EiEESC_Lm5ESD_iEENS6_INS7_ISA_SB_Lm4ESD_iEESH_SB_Lm5ESD_iEESI_PSC_iiiiiiiii.private_seg_size, 0
	.set _ZN2at6native12_GLOBAL__N_128conv_depthwise3d_cuda_kernelIffLin1ELin1ELin1ELi1ELi1ELi1EEEvN5torch10headeronly6detail27GenericPackedTensorAccessorINS5_14TensorAccessorIN3c108ArrayRefIlEEKT_Lm4ENS4_16DefaultPtrTraitsEiEENS_6detail16IndexBoundsCheckILm5EiEESC_Lm5ESD_iEENS6_INS7_ISA_SB_Lm4ESD_iEESH_SB_Lm5ESD_iEESI_PSC_iiiiiiiii.uses_vcc, 1
	.set _ZN2at6native12_GLOBAL__N_128conv_depthwise3d_cuda_kernelIffLin1ELin1ELin1ELi1ELi1ELi1EEEvN5torch10headeronly6detail27GenericPackedTensorAccessorINS5_14TensorAccessorIN3c108ArrayRefIlEEKT_Lm4ENS4_16DefaultPtrTraitsEiEENS_6detail16IndexBoundsCheckILm5EiEESC_Lm5ESD_iEENS6_INS7_ISA_SB_Lm4ESD_iEESH_SB_Lm5ESD_iEESI_PSC_iiiiiiiii.uses_flat_scratch, 0
	.set _ZN2at6native12_GLOBAL__N_128conv_depthwise3d_cuda_kernelIffLin1ELin1ELin1ELi1ELi1ELi1EEEvN5torch10headeronly6detail27GenericPackedTensorAccessorINS5_14TensorAccessorIN3c108ArrayRefIlEEKT_Lm4ENS4_16DefaultPtrTraitsEiEENS_6detail16IndexBoundsCheckILm5EiEESC_Lm5ESD_iEENS6_INS7_ISA_SB_Lm4ESD_iEESH_SB_Lm5ESD_iEESI_PSC_iiiiiiiii.has_dyn_sized_stack, 0
	.set _ZN2at6native12_GLOBAL__N_128conv_depthwise3d_cuda_kernelIffLin1ELin1ELin1ELi1ELi1ELi1EEEvN5torch10headeronly6detail27GenericPackedTensorAccessorINS5_14TensorAccessorIN3c108ArrayRefIlEEKT_Lm4ENS4_16DefaultPtrTraitsEiEENS_6detail16IndexBoundsCheckILm5EiEESC_Lm5ESD_iEENS6_INS7_ISA_SB_Lm4ESD_iEESH_SB_Lm5ESD_iEESI_PSC_iiiiiiiii.has_recursion, 0
	.set _ZN2at6native12_GLOBAL__N_128conv_depthwise3d_cuda_kernelIffLin1ELin1ELin1ELi1ELi1ELi1EEEvN5torch10headeronly6detail27GenericPackedTensorAccessorINS5_14TensorAccessorIN3c108ArrayRefIlEEKT_Lm4ENS4_16DefaultPtrTraitsEiEENS_6detail16IndexBoundsCheckILm5EiEESC_Lm5ESD_iEENS6_INS7_ISA_SB_Lm4ESD_iEESH_SB_Lm5ESD_iEESI_PSC_iiiiiiiii.has_indirect_call, 0
	.section	.AMDGPU.csdata,"",@progbits
; Kernel info:
; codeLenInByte = 2240
; TotalNumSgprs: 73
; NumVgprs: 25
; ScratchSize: 0
; MemoryBound: 0
; FloatMode: 240
; IeeeMode: 1
; LDSByteSize: 0 bytes/workgroup (compile time only)
; SGPRBlocks: 0
; VGPRBlocks: 3
; NumSGPRsForWavesPerEU: 73
; NumVGPRsForWavesPerEU: 25
; Occupancy: 16
; WaveLimiterHint : 0
; COMPUTE_PGM_RSRC2:SCRATCH_EN: 0
; COMPUTE_PGM_RSRC2:USER_SGPR: 2
; COMPUTE_PGM_RSRC2:TRAP_HANDLER: 0
; COMPUTE_PGM_RSRC2:TGID_X_EN: 1
; COMPUTE_PGM_RSRC2:TGID_Y_EN: 0
; COMPUTE_PGM_RSRC2:TGID_Z_EN: 0
; COMPUTE_PGM_RSRC2:TIDIG_COMP_CNT: 0
	.section	.text._ZN2at6native12_GLOBAL__N_128conv_depthwise3d_cuda_kernelIffLin1ELin1ELin1ELin1ELin1ELin1EEEvN5torch10headeronly6detail27GenericPackedTensorAccessorINS5_14TensorAccessorIN3c108ArrayRefIlEEKT_Lm4ENS4_16DefaultPtrTraitsEiEENS_6detail16IndexBoundsCheckILm5EiEESC_Lm5ESD_iEENS6_INS7_ISA_SB_Lm4ESD_iEESH_SB_Lm5ESD_iEESI_PSC_iiiiiiiii,"axG",@progbits,_ZN2at6native12_GLOBAL__N_128conv_depthwise3d_cuda_kernelIffLin1ELin1ELin1ELin1ELin1ELin1EEEvN5torch10headeronly6detail27GenericPackedTensorAccessorINS5_14TensorAccessorIN3c108ArrayRefIlEEKT_Lm4ENS4_16DefaultPtrTraitsEiEENS_6detail16IndexBoundsCheckILm5EiEESC_Lm5ESD_iEENS6_INS7_ISA_SB_Lm4ESD_iEESH_SB_Lm5ESD_iEESI_PSC_iiiiiiiii,comdat
	.globl	_ZN2at6native12_GLOBAL__N_128conv_depthwise3d_cuda_kernelIffLin1ELin1ELin1ELin1ELin1ELin1EEEvN5torch10headeronly6detail27GenericPackedTensorAccessorINS5_14TensorAccessorIN3c108ArrayRefIlEEKT_Lm4ENS4_16DefaultPtrTraitsEiEENS_6detail16IndexBoundsCheckILm5EiEESC_Lm5ESD_iEENS6_INS7_ISA_SB_Lm4ESD_iEESH_SB_Lm5ESD_iEESI_PSC_iiiiiiiii ; -- Begin function _ZN2at6native12_GLOBAL__N_128conv_depthwise3d_cuda_kernelIffLin1ELin1ELin1ELin1ELin1ELin1EEEvN5torch10headeronly6detail27GenericPackedTensorAccessorINS5_14TensorAccessorIN3c108ArrayRefIlEEKT_Lm4ENS4_16DefaultPtrTraitsEiEENS_6detail16IndexBoundsCheckILm5EiEESC_Lm5ESD_iEENS6_INS7_ISA_SB_Lm4ESD_iEESH_SB_Lm5ESD_iEESI_PSC_iiiiiiiii
	.p2align	8
	.type	_ZN2at6native12_GLOBAL__N_128conv_depthwise3d_cuda_kernelIffLin1ELin1ELin1ELin1ELin1ELin1EEEvN5torch10headeronly6detail27GenericPackedTensorAccessorINS5_14TensorAccessorIN3c108ArrayRefIlEEKT_Lm4ENS4_16DefaultPtrTraitsEiEENS_6detail16IndexBoundsCheckILm5EiEESC_Lm5ESD_iEENS6_INS7_ISA_SB_Lm4ESD_iEESH_SB_Lm5ESD_iEESI_PSC_iiiiiiiii,@function
_ZN2at6native12_GLOBAL__N_128conv_depthwise3d_cuda_kernelIffLin1ELin1ELin1ELin1ELin1ELin1EEEvN5torch10headeronly6detail27GenericPackedTensorAccessorINS5_14TensorAccessorIN3c108ArrayRefIlEEKT_Lm4ENS4_16DefaultPtrTraitsEiEENS_6detail16IndexBoundsCheckILm5EiEESC_Lm5ESD_iEENS6_INS7_ISA_SB_Lm4ESD_iEESH_SB_Lm5ESD_iEESI_PSC_iiiiiiiii: ; @_ZN2at6native12_GLOBAL__N_128conv_depthwise3d_cuda_kernelIffLin1ELin1ELin1ELin1ELin1ELin1EEEvN5torch10headeronly6detail27GenericPackedTensorAccessorINS5_14TensorAccessorIN3c108ArrayRefIlEEKT_Lm4ENS4_16DefaultPtrTraitsEiEENS_6detail16IndexBoundsCheckILm5EiEESC_Lm5ESD_iEENS6_INS7_ISA_SB_Lm4ESD_iEESH_SB_Lm5ESD_iEESI_PSC_iiiiiiiii
; %bb.0:
	s_clause 0x3
	s_load_b128 s[12:15], s[0:1], 0xc
	s_load_b32 s3, s[0:1], 0xcc
	s_load_b64 s[34:35], s[0:1], 0x48
	s_load_b128 s[16:19], s[0:1], 0x38
	v_mov_b32_e32 v1, 0
	s_wait_kmcnt 0x0
	s_abs_i32 s2, s12
	s_and_b32 s50, s3, 0xffff
	s_cvt_f32_u32 s4, s2
	v_mad_co_u64_u32 v[0:1], null, s50, ttmp9, v[0:1]
	s_mul_i32 s36, s35, s16
	s_delay_alu instid0(SALU_CYCLE_1) | instskip(SKIP_2) | instid1(TRANS32_DEP_1)
	v_rcp_iflag_f32_e32 v2, s4
	s_ashr_i32 s37, s36, 31
	s_mov_b32 s4, exec_lo
	v_readfirstlane_b32 s3, v2
	v_cmpx_gt_i64_e64 s[36:37], v[0:1]
	s_cbranch_execz .LBB5_17
; %bb.1:
	s_mul_f32 s3, s3, 0x4f7ffffe
	s_sub_co_i32 s4, 0, s2
	s_mov_b32 s39, 0
	s_abs_i32 s38, s17
	s_cvt_u32_f32 s3, s3
	s_mov_b32 s21, s39
	s_ashr_i32 s16, s17, 31
	s_load_b64 s[42:43], s[0:1], 0x90
	s_mul_i32 s4, s4, s3
	s_cvt_f32_u32 s53, s38
	s_wait_alu 0xfffe
	s_mul_hi_u32 s4, s3, s4
	s_wait_alu 0xfffe
	s_add_co_i32 s20, s3, s4
	s_ashr_i32 s3, s12, 31
	s_mul_u64 s[24:25], s[38:39], s[20:21]
	s_clause 0x1
	s_load_b128 s[20:23], s[0:1], 0x70
	s_load_b32 s40, s[0:1], 0xb8
	s_mul_i32 s12, s25, s2
	s_load_b256 s[4:11], s[0:1], 0x98
	s_xor_b32 s24, s16, s3
	s_sub_co_i32 s3, s38, s12
	s_add_co_i32 s12, s25, 1
	s_sub_co_i32 s26, s3, s2
	s_cmp_ge_u32 s3, s2
	v_rcp_iflag_f32_e32 v4, s53
	s_cselect_b32 s12, s12, s25
	s_cselect_b32 s3, s26, s3
	s_add_co_i32 s25, s12, 1
	s_cmp_ge_u32 s3, s2
	s_add_nc_u64 s[2:3], s[0:1], 0xc0
	s_cselect_b32 s12, s25, s12
	s_load_b32 s51, s[2:3], 0x0
	s_xor_b32 s2, s12, s24
	s_delay_alu instid0(SALU_CYCLE_1)
	s_sub_co_i32 s52, s2, s24
	s_wait_kmcnt 0x0
	s_cmp_gt_i32 s20, 0
	s_mul_i32 s2, s22, s40
	s_cselect_b32 s12, -1, 0
	s_cmp_gt_i32 s21, 0
	s_mul_i32 s24, s14, s10
	s_cselect_b32 s33, -1, 0
	s_cmp_gt_i32 s22, 0
	s_mul_i32 s25, s21, s11
	s_mul_i32 s3, s15, s11
	s_cselect_b32 s56, -1, 0
	s_sub_co_i32 s24, s24, s25
	s_sub_co_i32 s2, s3, s2
	s_mul_i32 s54, s24, s15
	s_ashr_i32 s41, s40, 31
	s_ashr_i32 s3, s2, 31
	;; [unrolled: 1-line block ×3, first 2 shown]
	s_cmp_lg_u64 s[42:43], 0
	s_clause 0x1
	s_load_b64 s[44:45], s[0:1], 0x0
	s_load_b128 s[24:27], s[0:1], 0x1c
	s_cselect_b32 s57, -1, 0
	s_abs_i32 s58, s34
	s_abs_i32 s59, s19
	s_cvt_f32_u32 s28, s58
	s_cvt_f32_u32 s29, s59
	s_abs_i32 s61, s18
	s_clause 0x1
	s_load_b32 s60, s[0:1], 0x2c
	s_load_b64 s[46:47], s[0:1], 0x30
	v_rcp_iflag_f32_e32 v2, s28
	v_rcp_iflag_f32_e32 v3, s29
	s_clause 0x1
	s_load_b64 s[48:49], s[0:1], 0x60
	s_load_b128 s[28:31], s[0:1], 0x50
	s_cvt_f32_u32 s0, s61
	s_abs_i32 s64, s52
	s_mul_i32 s62, s51, s50
	s_cvt_f32_u32 s53, s64
	s_sub_co_i32 s50, 0, s58
	s_sub_co_i32 s51, 0, s59
	s_ashr_i32 s63, s34, 31
	v_readfirstlane_b32 s1, v2
	s_wait_alu 0xfffe
	v_rcp_iflag_f32_e32 v2, s0
	v_readfirstlane_b32 s0, v3
	s_ashr_i32 s68, s18, 31
	s_ashr_i32 s71, s52, 31
	s_mul_f32 s1, s1, 0x4f7ffffe
	s_lshl_b64 s[54:55], s[54:55], 2
	s_mul_f32 s0, s0, 0x4f7ffffe
	s_wait_alu 0xfffe
	s_cvt_u32_f32 s1, s1
	s_delay_alu instid0(TRANS32_DEP_1)
	v_readfirstlane_b32 s66, v2
	v_rcp_iflag_f32_e32 v2, s53
	s_cvt_u32_f32 s0, s0
	s_wait_alu 0xfffe
	s_mul_i32 s50, s50, s1
	s_lshl_b64 s[52:53], s[2:3], 2
	s_wait_alu 0xfffe
	s_mul_hi_u32 s50, s1, s50
	s_mul_i32 s51, s51, s0
	s_wait_alu 0xfffe
	s_add_co_i32 s65, s1, s50
	s_mul_f32 s1, s66, 0x4f7ffffe
	s_mul_hi_u32 s50, s0, s51
	v_readfirstlane_b32 s51, v4
	s_wait_alu 0xfffe
	s_add_co_i32 s67, s0, s50
	v_readfirstlane_b32 s50, v2
	s_cvt_u32_f32 s1, s1
	s_sub_co_i32 s0, 0, s61
	s_mul_f32 s51, s51, 0x4f7ffffe
	s_ashr_i32 s66, s19, 31
	s_wait_alu 0xfffe
	s_mul_i32 s0, s0, s1
	s_mul_f32 s50, s50, 0x4f7ffffe
	s_wait_alu 0xfffe
	s_mul_hi_u32 s0, s1, s0
	s_cvt_u32_f32 s51, s51
	s_wait_alu 0xfffe
	s_add_co_i32 s69, s1, s0
	s_sub_co_i32 s0, 0, s38
	s_cvt_u32_f32 s1, s50
	s_wait_alu 0xfffe
	s_mul_i32 s0, s0, s51
	s_sub_co_i32 s50, 0, s64
	s_wait_alu 0xfffe
	s_mul_hi_u32 s0, s51, s0
	s_mul_i32 s50, s50, s1
	s_wait_alu 0xfffe
	s_add_co_i32 s70, s51, s0
	s_mul_hi_u32 s0, s1, s50
	s_lshl_b64 s[50:51], s[40:41], 2
	s_wait_alu 0xfffe
	s_add_co_i32 s72, s1, s0
	s_branch .LBB5_3
.LBB5_2:                                ;   in Loop: Header=BB5_3 Depth=1
	v_mul_lo_u32 v3, v13, s35
	s_wait_kmcnt 0x0
	v_mul_lo_u32 v5, s28, v2
	v_mul_lo_u32 v2, s29, v12
	;; [unrolled: 1-line block ×3, first 2 shown]
	v_add_co_u32 v0, vcc_lo, v0, s62
	s_wait_alu 0xfffd
	v_add_co_ci_u32_e64 v1, null, 0, v1, vcc_lo
	v_ashrrev_i32_e32 v4, 31, v3
	v_ashrrev_i32_e32 v6, 31, v5
	v_mul_lo_u32 v9, s31, v10
	v_ashrrev_i32_e32 v8, 31, v7
	s_delay_alu instid0(VALU_DEP_4) | instskip(SKIP_3) | instid1(VALU_DEP_4)
	v_lshlrev_b64_e32 v[11:12], 2, v[3:4]
	v_ashrrev_i32_e32 v3, 31, v2
	v_lshlrev_b64_e32 v[4:5], 2, v[5:6]
	v_ashrrev_i32_e32 v10, 31, v9
	v_add_co_u32 v6, vcc_lo, s46, v11
	s_wait_alu 0xfffd
	v_add_co_ci_u32_e64 v11, null, s47, v12, vcc_lo
	v_lshlrev_b64_e32 v[2:3], 2, v[2:3]
	s_delay_alu instid0(VALU_DEP_3) | instskip(SKIP_1) | instid1(VALU_DEP_3)
	v_add_co_u32 v6, vcc_lo, v6, v4
	s_wait_alu 0xfffd
	v_add_co_ci_u32_e64 v11, null, v11, v5, vcc_lo
	v_lshlrev_b64_e32 v[4:5], 2, v[7:8]
	s_delay_alu instid0(VALU_DEP_3) | instskip(SKIP_1) | instid1(VALU_DEP_3)
	v_add_co_u32 v6, vcc_lo, v6, v2
	s_wait_alu 0xfffd
	v_add_co_ci_u32_e64 v7, null, v11, v3, vcc_lo
	v_lshlrev_b64_e32 v[2:3], 2, v[9:10]
	s_delay_alu instid0(VALU_DEP_3) | instskip(SKIP_1) | instid1(VALU_DEP_3)
	v_add_co_u32 v4, vcc_lo, v6, v4
	s_wait_alu 0xfffd
	v_add_co_ci_u32_e64 v5, null, v7, v5, vcc_lo
	v_cmp_le_i64_e32 vcc_lo, s[36:37], v[0:1]
	s_delay_alu instid0(VALU_DEP_3) | instskip(SKIP_1) | instid1(VALU_DEP_3)
	v_add_co_u32 v2, s0, v4, v2
	s_wait_alu 0xf1ff
	v_add_co_ci_u32_e64 v3, null, v5, v3, s0
	s_or_b32 s39, vcc_lo, s39
	global_store_b32 v[2:3], v14, off
	s_wait_alu 0xfffe
	s_and_not1_b32 exec_lo, exec_lo, s39
	s_cbranch_execz .LBB5_17
.LBB5_3:                                ; =>This Loop Header: Depth=1
                                        ;     Child Loop BB5_6 Depth 2
                                        ;       Child Loop BB5_9 Depth 3
                                        ;         Child Loop BB5_12 Depth 4
	v_sub_nc_u32_e32 v2, 0, v0
	s_delay_alu instid0(VALU_DEP_1) | instskip(NEXT) | instid1(VALU_DEP_1)
	v_max_i32_e32 v2, v0, v2
	v_mul_hi_u32 v3, v2, s65
	s_delay_alu instid0(VALU_DEP_1) | instskip(NEXT) | instid1(VALU_DEP_1)
	v_mul_lo_u32 v4, v3, s58
	v_sub_nc_u32_e32 v2, v2, v4
	v_add_nc_u32_e32 v4, 1, v3
	s_delay_alu instid0(VALU_DEP_2) | instskip(SKIP_2) | instid1(VALU_DEP_2)
	v_subrev_nc_u32_e32 v5, s58, v2
	v_cmp_le_u32_e32 vcc_lo, s58, v2
	s_wait_alu 0xfffd
	v_dual_cndmask_b32 v3, v3, v4 :: v_dual_cndmask_b32 v2, v2, v5
	v_ashrrev_i32_e32 v4, 31, v0
	s_delay_alu instid0(VALU_DEP_2) | instskip(NEXT) | instid1(VALU_DEP_3)
	v_add_nc_u32_e32 v5, 1, v3
	v_cmp_le_u32_e32 vcc_lo, s58, v2
	s_delay_alu instid0(VALU_DEP_3) | instskip(SKIP_1) | instid1(VALU_DEP_3)
	v_xor_b32_e32 v4, s63, v4
	s_wait_alu 0xfffd
	v_cndmask_b32_e32 v2, v3, v5, vcc_lo
	s_delay_alu instid0(VALU_DEP_1) | instskip(NEXT) | instid1(VALU_DEP_1)
	v_xor_b32_e32 v2, v2, v4
	v_sub_nc_u32_e32 v3, v2, v4
	s_delay_alu instid0(VALU_DEP_1) | instskip(NEXT) | instid1(VALU_DEP_1)
	v_sub_nc_u32_e32 v2, 0, v3
	v_max_i32_e32 v2, v3, v2
	s_delay_alu instid0(VALU_DEP_1) | instskip(NEXT) | instid1(VALU_DEP_1)
	v_mul_hi_u32 v4, v2, s67
	v_mul_lo_u32 v5, v4, s59
	s_delay_alu instid0(VALU_DEP_1) | instskip(SKIP_1) | instid1(VALU_DEP_2)
	v_sub_nc_u32_e32 v2, v2, v5
	v_add_nc_u32_e32 v5, 1, v4
	v_subrev_nc_u32_e32 v6, s59, v2
	v_cmp_le_u32_e32 vcc_lo, s59, v2
	s_wait_alu 0xfffd
	s_delay_alu instid0(VALU_DEP_3) | instskip(NEXT) | instid1(VALU_DEP_3)
	v_cndmask_b32_e32 v4, v4, v5, vcc_lo
	v_cndmask_b32_e32 v2, v2, v6, vcc_lo
	v_ashrrev_i32_e32 v5, 31, v3
	s_delay_alu instid0(VALU_DEP_3) | instskip(NEXT) | instid1(VALU_DEP_3)
	v_add_nc_u32_e32 v6, 1, v4
	v_cmp_le_u32_e32 vcc_lo, s59, v2
	s_delay_alu instid0(VALU_DEP_3) | instskip(SKIP_1) | instid1(VALU_DEP_3)
	v_xor_b32_e32 v5, s66, v5
	s_wait_alu 0xfffd
	v_cndmask_b32_e32 v2, v4, v6, vcc_lo
	s_delay_alu instid0(VALU_DEP_1) | instskip(NEXT) | instid1(VALU_DEP_1)
	v_xor_b32_e32 v2, v2, v5
	v_sub_nc_u32_e32 v4, v2, v5
	s_delay_alu instid0(VALU_DEP_1) | instskip(NEXT) | instid1(VALU_DEP_1)
	v_sub_nc_u32_e32 v2, 0, v4
	v_max_i32_e32 v2, v4, v2
	s_delay_alu instid0(VALU_DEP_1) | instskip(NEXT) | instid1(VALU_DEP_1)
	v_mul_hi_u32 v5, v2, s69
	v_mul_lo_u32 v6, v5, s61
	s_delay_alu instid0(VALU_DEP_1) | instskip(SKIP_1) | instid1(VALU_DEP_2)
	v_sub_nc_u32_e32 v2, v2, v6
	v_add_nc_u32_e32 v6, 1, v5
	v_subrev_nc_u32_e32 v7, s61, v2
	v_cmp_le_u32_e32 vcc_lo, s61, v2
	s_wait_alu 0xfffd
	s_delay_alu instid0(VALU_DEP_2) | instskip(SKIP_1) | instid1(VALU_DEP_2)
	v_dual_cndmask_b32 v5, v5, v6 :: v_dual_cndmask_b32 v2, v2, v7
	v_ashrrev_i32_e32 v6, 31, v4
	v_add_nc_u32_e32 v7, 1, v5
	s_delay_alu instid0(VALU_DEP_3) | instskip(NEXT) | instid1(VALU_DEP_3)
	v_cmp_le_u32_e32 vcc_lo, s61, v2
	v_xor_b32_e32 v6, s68, v6
	s_wait_alu 0xfffd
	s_delay_alu instid0(VALU_DEP_3) | instskip(NEXT) | instid1(VALU_DEP_1)
	v_cndmask_b32_e32 v2, v5, v7, vcc_lo
	v_xor_b32_e32 v2, v2, v6
	s_delay_alu instid0(VALU_DEP_1) | instskip(NEXT) | instid1(VALU_DEP_1)
	v_sub_nc_u32_e32 v2, v2, v6
	v_sub_nc_u32_e32 v5, 0, v2
	s_delay_alu instid0(VALU_DEP_1) | instskip(NEXT) | instid1(VALU_DEP_1)
	v_max_i32_e32 v5, v2, v5
	v_mul_hi_u32 v6, v5, s70
	s_delay_alu instid0(VALU_DEP_1) | instskip(NEXT) | instid1(VALU_DEP_1)
	v_mul_lo_u32 v7, v6, s38
	v_sub_nc_u32_e32 v5, v5, v7
	v_add_nc_u32_e32 v7, 1, v6
	s_delay_alu instid0(VALU_DEP_2) | instskip(SKIP_2) | instid1(VALU_DEP_2)
	v_subrev_nc_u32_e32 v8, s38, v5
	v_cmp_le_u32_e32 vcc_lo, s38, v5
	s_wait_alu 0xfffd
	v_dual_cndmask_b32 v6, v6, v7 :: v_dual_cndmask_b32 v5, v5, v8
	v_ashrrev_i32_e32 v7, 31, v2
	s_delay_alu instid0(VALU_DEP_2) | instskip(NEXT) | instid1(VALU_DEP_3)
	v_add_nc_u32_e32 v8, 1, v6
	v_cmp_le_u32_e32 vcc_lo, s38, v5
	s_delay_alu instid0(VALU_DEP_3) | instskip(SKIP_1) | instid1(VALU_DEP_3)
	v_xor_b32_e32 v7, s16, v7
	s_wait_alu 0xfffd
	v_cndmask_b32_e32 v5, v6, v8, vcc_lo
	v_mul_lo_u32 v6, v3, s34
	v_mul_lo_u32 v8, v2, s18
	s_and_not1_b32 vcc_lo, exec_lo, s12
	s_delay_alu instid0(VALU_DEP_3) | instskip(NEXT) | instid1(VALU_DEP_3)
	v_xor_b32_e32 v5, v5, v7
	v_sub_nc_u32_e32 v10, v0, v6
	s_delay_alu instid0(VALU_DEP_2) | instskip(SKIP_2) | instid1(VALU_DEP_3)
	v_sub_nc_u32_e32 v13, v5, v7
	v_mul_lo_u32 v7, v4, s19
	v_sub_nc_u32_e32 v12, v4, v8
	v_mul_lo_u32 v5, v13, s17
	s_delay_alu instid0(VALU_DEP_3) | instskip(NEXT) | instid1(VALU_DEP_2)
	v_sub_nc_u32_e32 v11, v3, v7
	v_sub_nc_u32_e32 v2, v2, v5
	s_delay_alu instid0(VALU_DEP_1)
	v_ashrrev_i32_e32 v3, 31, v2
	s_wait_alu 0xfffe
	s_cbranch_vccnz .LBB5_14
; %bb.4:                                ;   in Loop: Header=BB5_3 Depth=1
	v_sub_nc_u32_e32 v4, 0, v2
	v_mul_lo_u32 v9, v11, s5
	v_mul_lo_u32 v14, v10, s6
	;; [unrolled: 1-line block ×3, first 2 shown]
	s_mov_b32 s3, 0
	v_max_i32_e32 v4, v2, v4
	s_delay_alu instid0(VALU_DEP_3) | instskip(NEXT) | instid1(VALU_DEP_2)
	v_subrev_nc_u32_e32 v15, s9, v14
	v_mul_hi_u32 v5, v4, s72
	s_wait_kmcnt 0x0
	s_delay_alu instid0(VALU_DEP_2) | instskip(NEXT) | instid1(VALU_DEP_2)
	v_mul_lo_u32 v22, s60, v15
	v_mul_lo_u32 v6, v5, s64
	s_delay_alu instid0(VALU_DEP_2) | instskip(NEXT) | instid1(VALU_DEP_2)
	v_ashrrev_i32_e32 v23, 31, v22
	v_sub_nc_u32_e32 v4, v4, v6
	v_add_nc_u32_e32 v6, 1, v5
	s_delay_alu instid0(VALU_DEP_2) | instskip(SKIP_2) | instid1(VALU_DEP_2)
	v_subrev_nc_u32_e32 v7, s64, v4
	v_cmp_le_u32_e32 vcc_lo, s64, v4
	s_wait_alu 0xfffd
	v_dual_cndmask_b32 v5, v5, v6 :: v_dual_cndmask_b32 v4, v4, v7
	v_xor_b32_e32 v7, s71, v3
	s_delay_alu instid0(VALU_DEP_2) | instskip(NEXT) | instid1(VALU_DEP_3)
	v_add_nc_u32_e32 v6, 1, v5
	v_cmp_le_u32_e32 vcc_lo, s64, v4
	s_wait_alu 0xfffd
	s_delay_alu instid0(VALU_DEP_2) | instskip(SKIP_2) | instid1(VALU_DEP_3)
	v_cndmask_b32_e32 v4, v5, v6, vcc_lo
	v_mul_lo_u32 v5, v12, s4
	v_mul_lo_u32 v6, s24, v13
	v_xor_b32_e32 v4, v4, v7
	s_delay_alu instid0(VALU_DEP_1) | instskip(NEXT) | instid1(VALU_DEP_4)
	v_sub_nc_u32_e32 v7, v4, v7
	v_subrev_nc_u32_e32 v4, s7, v5
	v_subrev_nc_u32_e32 v5, s8, v9
	v_ashrrev_i32_e32 v9, 31, v8
	s_delay_alu instid0(VALU_DEP_4) | instskip(SKIP_4) | instid1(VALU_DEP_4)
	v_mul_lo_u32 v16, s25, v7
	v_ashrrev_i32_e32 v7, 31, v6
	v_mul_lo_u32 v18, s26, v4
	v_mul_lo_u32 v20, s27, v5
	v_lshlrev_b64_e32 v[8:9], 2, v[8:9]
	v_lshlrev_b64_e32 v[6:7], 2, v[6:7]
	v_ashrrev_i32_e32 v17, 31, v16
	v_ashrrev_i32_e32 v19, 31, v18
	;; [unrolled: 1-line block ×3, first 2 shown]
	s_delay_alu instid0(VALU_DEP_4) | instskip(NEXT) | instid1(VALU_DEP_4)
	v_add_co_u32 v14, vcc_lo, s44, v6
	v_lshlrev_b64_e32 v[16:17], 2, v[16:17]
	s_wait_alu 0xfffd
	v_add_co_ci_u32_e64 v24, null, s45, v7, vcc_lo
	v_lshlrev_b64_e32 v[6:7], 2, v[18:19]
	s_delay_alu instid0(VALU_DEP_3) | instskip(SKIP_1) | instid1(VALU_DEP_3)
	v_add_co_u32 v14, vcc_lo, v14, v16
	s_wait_alu 0xfffd
	v_add_co_ci_u32_e64 v18, null, v24, v17, vcc_lo
	v_lshlrev_b64_e32 v[16:17], 2, v[20:21]
	s_delay_alu instid0(VALU_DEP_3) | instskip(SKIP_1) | instid1(VALU_DEP_3)
	v_add_co_u32 v6, vcc_lo, v14, v6
	;; [unrolled: 5-line block ×3, first 2 shown]
	s_wait_alu 0xfffd
	v_add_co_ci_u32_e64 v16, null, v7, v17, vcc_lo
	v_add_co_u32 v6, vcc_lo, s48, v8
	s_wait_alu 0xfffd
	v_add_co_ci_u32_e64 v7, null, s49, v9, vcc_lo
	v_add_co_u32 v8, vcc_lo, v14, v18
	s_wait_alu 0xfffd
	v_add_co_ci_u32_e64 v9, null, v16, v19, vcc_lo
	v_mov_b32_e32 v14, 0
	s_branch .LBB5_6
.LBB5_5:                                ;   in Loop: Header=BB5_6 Depth=2
	v_add_co_u32 v8, vcc_lo, v8, s54
	s_wait_alu 0xfffd
	v_add_co_ci_u32_e64 v9, null, s55, v9, vcc_lo
	s_add_co_i32 s3, s3, 1
	s_wait_alu 0xfffe
	s_cmp_eq_u32 s3, s20
	s_cbranch_scc1 .LBB5_15
.LBB5_6:                                ;   Parent Loop BB5_3 Depth=1
                                        ; =>  This Loop Header: Depth=2
                                        ;       Child Loop BB5_9 Depth 3
                                        ;         Child Loop BB5_12 Depth 4
	s_and_not1_b32 vcc_lo, exec_lo, s33
	s_wait_alu 0xfffe
	s_cbranch_vccnz .LBB5_5
; %bb.7:                                ;   in Loop: Header=BB5_6 Depth=2
	v_mad_co_u64_u32 v[16:17], null, s3, s10, v[4:5]
	s_mov_b32 s41, 0
	v_cmp_lt_i32_e64 s0, -1, v16
	v_cmp_gt_i32_e64 s1, s13, v16
	s_branch .LBB5_9
.LBB5_8:                                ;   in Loop: Header=BB5_9 Depth=3
	v_add_co_u32 v8, vcc_lo, v8, s52
	s_wait_alu 0xfffd
	v_add_co_ci_u32_e64 v9, null, s53, v9, vcc_lo
	s_add_co_i32 s41, s41, 1
	s_wait_alu 0xfffe
	s_cmp_eq_u32 s41, s21
	s_cbranch_scc1 .LBB5_5
.LBB5_9:                                ;   Parent Loop BB5_3 Depth=1
                                        ;     Parent Loop BB5_6 Depth=2
                                        ; =>    This Loop Header: Depth=3
                                        ;         Child Loop BB5_12 Depth 4
	s_and_not1_b32 vcc_lo, exec_lo, s56
	s_wait_alu 0xfffe
	s_cbranch_vccnz .LBB5_8
; %bb.10:                               ;   in Loop: Header=BB5_9 Depth=3
	v_mad_co_u64_u32 v[17:18], null, s41, s11, v[5:6]
	v_mov_b32_e32 v16, v15
	s_mov_b32 s74, s22
	s_delay_alu instid0(VALU_DEP_2)
	v_cmp_lt_i32_e64 s2, -1, v17
	v_cmp_gt_i32_e32 vcc_lo, s14, v17
	s_and_b32 s73, s0, s2
	s_branch .LBB5_12
.LBB5_11:                               ;   in Loop: Header=BB5_12 Depth=4
	s_wait_alu 0xfffe
	s_or_b32 exec_lo, exec_lo, s2
	v_add_co_u32 v6, s2, v6, 4
	s_wait_alu 0xf1ff
	v_add_co_ci_u32_e64 v7, null, 0, v7, s2
	v_add_co_u32 v8, s2, v8, s50
	v_add_nc_u32_e32 v16, s40, v16
	s_wait_alu 0xf1ff
	v_add_co_ci_u32_e64 v9, null, s51, v9, s2
	s_add_co_i32 s74, s74, -1
	s_delay_alu instid0(SALU_CYCLE_1)
	s_cmp_eq_u32 s74, 0
	s_cbranch_scc1 .LBB5_8
.LBB5_12:                               ;   Parent Loop BB5_3 Depth=1
                                        ;     Parent Loop BB5_6 Depth=2
                                        ;       Parent Loop BB5_9 Depth=3
                                        ; =>      This Inner Loop Header: Depth=4
	v_cmp_lt_i32_e64 s2, -1, v16
	s_wait_alu 0xfffe
	s_and_b32 s75, s73, s2
	v_cmp_gt_i32_e64 s2, s15, v16
	s_and_b32 s75, s75, s1
	s_delay_alu instid0(SALU_CYCLE_1) | instskip(NEXT) | instid1(SALU_CYCLE_1)
	s_and_b32 s75, s75, vcc_lo
	s_and_b32 s75, s75, s2
	s_delay_alu instid0(SALU_CYCLE_1)
	s_and_saveexec_b32 s2, s75
	s_cbranch_execz .LBB5_11
; %bb.13:                               ;   in Loop: Header=BB5_12 Depth=4
	global_load_b32 v17, v[6:7], off
	global_load_b32 v18, v[8:9], off
	s_wait_loadcnt 0x0
	v_fmac_f32_e32 v14, v17, v18
	s_branch .LBB5_11
.LBB5_14:                               ;   in Loop: Header=BB5_3 Depth=1
	v_mov_b32_e32 v14, 0
.LBB5_15:                               ;   in Loop: Header=BB5_3 Depth=1
	s_and_b32 vcc_lo, exec_lo, s57
	s_wait_alu 0xfffe
	s_cbranch_vccz .LBB5_2
; %bb.16:                               ;   in Loop: Header=BB5_3 Depth=1
	v_lshlrev_b64_e32 v[3:4], 2, v[2:3]
	s_delay_alu instid0(VALU_DEP_1) | instskip(SKIP_1) | instid1(VALU_DEP_2)
	v_add_co_u32 v3, vcc_lo, s42, v3
	s_wait_alu 0xfffd
	v_add_co_ci_u32_e64 v4, null, s43, v4, vcc_lo
	global_load_b32 v3, v[3:4], off
	s_wait_loadcnt 0x0
	v_add_f32_e32 v14, v14, v3
	s_branch .LBB5_2
.LBB5_17:
	s_endpgm
	.section	.rodata,"a",@progbits
	.p2align	6, 0x0
	.amdhsa_kernel _ZN2at6native12_GLOBAL__N_128conv_depthwise3d_cuda_kernelIffLin1ELin1ELin1ELin1ELin1ELin1EEEvN5torch10headeronly6detail27GenericPackedTensorAccessorINS5_14TensorAccessorIN3c108ArrayRefIlEEKT_Lm4ENS4_16DefaultPtrTraitsEiEENS_6detail16IndexBoundsCheckILm5EiEESC_Lm5ESD_iEENS6_INS7_ISA_SB_Lm4ESD_iEESH_SB_Lm5ESD_iEESI_PSC_iiiiiiiii
		.amdhsa_group_segment_fixed_size 0
		.amdhsa_private_segment_fixed_size 0
		.amdhsa_kernarg_size 448
		.amdhsa_user_sgpr_count 2
		.amdhsa_user_sgpr_dispatch_ptr 0
		.amdhsa_user_sgpr_queue_ptr 0
		.amdhsa_user_sgpr_kernarg_segment_ptr 1
		.amdhsa_user_sgpr_dispatch_id 0
		.amdhsa_user_sgpr_private_segment_size 0
		.amdhsa_wavefront_size32 1
		.amdhsa_uses_dynamic_stack 0
		.amdhsa_enable_private_segment 0
		.amdhsa_system_sgpr_workgroup_id_x 1
		.amdhsa_system_sgpr_workgroup_id_y 0
		.amdhsa_system_sgpr_workgroup_id_z 0
		.amdhsa_system_sgpr_workgroup_info 0
		.amdhsa_system_vgpr_workitem_id 0
		.amdhsa_next_free_vgpr 25
		.amdhsa_next_free_sgpr 76
		.amdhsa_reserve_vcc 1
		.amdhsa_float_round_mode_32 0
		.amdhsa_float_round_mode_16_64 0
		.amdhsa_float_denorm_mode_32 3
		.amdhsa_float_denorm_mode_16_64 3
		.amdhsa_fp16_overflow 0
		.amdhsa_workgroup_processor_mode 1
		.amdhsa_memory_ordered 1
		.amdhsa_forward_progress 1
		.amdhsa_inst_pref_size 18
		.amdhsa_round_robin_scheduling 0
		.amdhsa_exception_fp_ieee_invalid_op 0
		.amdhsa_exception_fp_denorm_src 0
		.amdhsa_exception_fp_ieee_div_zero 0
		.amdhsa_exception_fp_ieee_overflow 0
		.amdhsa_exception_fp_ieee_underflow 0
		.amdhsa_exception_fp_ieee_inexact 0
		.amdhsa_exception_int_div_zero 0
	.end_amdhsa_kernel
	.section	.text._ZN2at6native12_GLOBAL__N_128conv_depthwise3d_cuda_kernelIffLin1ELin1ELin1ELin1ELin1ELin1EEEvN5torch10headeronly6detail27GenericPackedTensorAccessorINS5_14TensorAccessorIN3c108ArrayRefIlEEKT_Lm4ENS4_16DefaultPtrTraitsEiEENS_6detail16IndexBoundsCheckILm5EiEESC_Lm5ESD_iEENS6_INS7_ISA_SB_Lm4ESD_iEESH_SB_Lm5ESD_iEESI_PSC_iiiiiiiii,"axG",@progbits,_ZN2at6native12_GLOBAL__N_128conv_depthwise3d_cuda_kernelIffLin1ELin1ELin1ELin1ELin1ELin1EEEvN5torch10headeronly6detail27GenericPackedTensorAccessorINS5_14TensorAccessorIN3c108ArrayRefIlEEKT_Lm4ENS4_16DefaultPtrTraitsEiEENS_6detail16IndexBoundsCheckILm5EiEESC_Lm5ESD_iEENS6_INS7_ISA_SB_Lm4ESD_iEESH_SB_Lm5ESD_iEESI_PSC_iiiiiiiii,comdat
.Lfunc_end5:
	.size	_ZN2at6native12_GLOBAL__N_128conv_depthwise3d_cuda_kernelIffLin1ELin1ELin1ELin1ELin1ELin1EEEvN5torch10headeronly6detail27GenericPackedTensorAccessorINS5_14TensorAccessorIN3c108ArrayRefIlEEKT_Lm4ENS4_16DefaultPtrTraitsEiEENS_6detail16IndexBoundsCheckILm5EiEESC_Lm5ESD_iEENS6_INS7_ISA_SB_Lm4ESD_iEESH_SB_Lm5ESD_iEESI_PSC_iiiiiiiii, .Lfunc_end5-_ZN2at6native12_GLOBAL__N_128conv_depthwise3d_cuda_kernelIffLin1ELin1ELin1ELin1ELin1ELin1EEEvN5torch10headeronly6detail27GenericPackedTensorAccessorINS5_14TensorAccessorIN3c108ArrayRefIlEEKT_Lm4ENS4_16DefaultPtrTraitsEiEENS_6detail16IndexBoundsCheckILm5EiEESC_Lm5ESD_iEENS6_INS7_ISA_SB_Lm4ESD_iEESH_SB_Lm5ESD_iEESI_PSC_iiiiiiiii
                                        ; -- End function
	.set _ZN2at6native12_GLOBAL__N_128conv_depthwise3d_cuda_kernelIffLin1ELin1ELin1ELin1ELin1ELin1EEEvN5torch10headeronly6detail27GenericPackedTensorAccessorINS5_14TensorAccessorIN3c108ArrayRefIlEEKT_Lm4ENS4_16DefaultPtrTraitsEiEENS_6detail16IndexBoundsCheckILm5EiEESC_Lm5ESD_iEENS6_INS7_ISA_SB_Lm4ESD_iEESH_SB_Lm5ESD_iEESI_PSC_iiiiiiiii.num_vgpr, 25
	.set _ZN2at6native12_GLOBAL__N_128conv_depthwise3d_cuda_kernelIffLin1ELin1ELin1ELin1ELin1ELin1EEEvN5torch10headeronly6detail27GenericPackedTensorAccessorINS5_14TensorAccessorIN3c108ArrayRefIlEEKT_Lm4ENS4_16DefaultPtrTraitsEiEENS_6detail16IndexBoundsCheckILm5EiEESC_Lm5ESD_iEENS6_INS7_ISA_SB_Lm4ESD_iEESH_SB_Lm5ESD_iEESI_PSC_iiiiiiiii.num_agpr, 0
	.set _ZN2at6native12_GLOBAL__N_128conv_depthwise3d_cuda_kernelIffLin1ELin1ELin1ELin1ELin1ELin1EEEvN5torch10headeronly6detail27GenericPackedTensorAccessorINS5_14TensorAccessorIN3c108ArrayRefIlEEKT_Lm4ENS4_16DefaultPtrTraitsEiEENS_6detail16IndexBoundsCheckILm5EiEESC_Lm5ESD_iEENS6_INS7_ISA_SB_Lm4ESD_iEESH_SB_Lm5ESD_iEESI_PSC_iiiiiiiii.numbered_sgpr, 76
	.set _ZN2at6native12_GLOBAL__N_128conv_depthwise3d_cuda_kernelIffLin1ELin1ELin1ELin1ELin1ELin1EEEvN5torch10headeronly6detail27GenericPackedTensorAccessorINS5_14TensorAccessorIN3c108ArrayRefIlEEKT_Lm4ENS4_16DefaultPtrTraitsEiEENS_6detail16IndexBoundsCheckILm5EiEESC_Lm5ESD_iEENS6_INS7_ISA_SB_Lm4ESD_iEESH_SB_Lm5ESD_iEESI_PSC_iiiiiiiii.num_named_barrier, 0
	.set _ZN2at6native12_GLOBAL__N_128conv_depthwise3d_cuda_kernelIffLin1ELin1ELin1ELin1ELin1ELin1EEEvN5torch10headeronly6detail27GenericPackedTensorAccessorINS5_14TensorAccessorIN3c108ArrayRefIlEEKT_Lm4ENS4_16DefaultPtrTraitsEiEENS_6detail16IndexBoundsCheckILm5EiEESC_Lm5ESD_iEENS6_INS7_ISA_SB_Lm4ESD_iEESH_SB_Lm5ESD_iEESI_PSC_iiiiiiiii.private_seg_size, 0
	.set _ZN2at6native12_GLOBAL__N_128conv_depthwise3d_cuda_kernelIffLin1ELin1ELin1ELin1ELin1ELin1EEEvN5torch10headeronly6detail27GenericPackedTensorAccessorINS5_14TensorAccessorIN3c108ArrayRefIlEEKT_Lm4ENS4_16DefaultPtrTraitsEiEENS_6detail16IndexBoundsCheckILm5EiEESC_Lm5ESD_iEENS6_INS7_ISA_SB_Lm4ESD_iEESH_SB_Lm5ESD_iEESI_PSC_iiiiiiiii.uses_vcc, 1
	.set _ZN2at6native12_GLOBAL__N_128conv_depthwise3d_cuda_kernelIffLin1ELin1ELin1ELin1ELin1ELin1EEEvN5torch10headeronly6detail27GenericPackedTensorAccessorINS5_14TensorAccessorIN3c108ArrayRefIlEEKT_Lm4ENS4_16DefaultPtrTraitsEiEENS_6detail16IndexBoundsCheckILm5EiEESC_Lm5ESD_iEENS6_INS7_ISA_SB_Lm4ESD_iEESH_SB_Lm5ESD_iEESI_PSC_iiiiiiiii.uses_flat_scratch, 0
	.set _ZN2at6native12_GLOBAL__N_128conv_depthwise3d_cuda_kernelIffLin1ELin1ELin1ELin1ELin1ELin1EEEvN5torch10headeronly6detail27GenericPackedTensorAccessorINS5_14TensorAccessorIN3c108ArrayRefIlEEKT_Lm4ENS4_16DefaultPtrTraitsEiEENS_6detail16IndexBoundsCheckILm5EiEESC_Lm5ESD_iEENS6_INS7_ISA_SB_Lm4ESD_iEESH_SB_Lm5ESD_iEESI_PSC_iiiiiiiii.has_dyn_sized_stack, 0
	.set _ZN2at6native12_GLOBAL__N_128conv_depthwise3d_cuda_kernelIffLin1ELin1ELin1ELin1ELin1ELin1EEEvN5torch10headeronly6detail27GenericPackedTensorAccessorINS5_14TensorAccessorIN3c108ArrayRefIlEEKT_Lm4ENS4_16DefaultPtrTraitsEiEENS_6detail16IndexBoundsCheckILm5EiEESC_Lm5ESD_iEENS6_INS7_ISA_SB_Lm4ESD_iEESH_SB_Lm5ESD_iEESI_PSC_iiiiiiiii.has_recursion, 0
	.set _ZN2at6native12_GLOBAL__N_128conv_depthwise3d_cuda_kernelIffLin1ELin1ELin1ELin1ELin1ELin1EEEvN5torch10headeronly6detail27GenericPackedTensorAccessorINS5_14TensorAccessorIN3c108ArrayRefIlEEKT_Lm4ENS4_16DefaultPtrTraitsEiEENS_6detail16IndexBoundsCheckILm5EiEESC_Lm5ESD_iEENS6_INS7_ISA_SB_Lm4ESD_iEESH_SB_Lm5ESD_iEESI_PSC_iiiiiiiii.has_indirect_call, 0
	.section	.AMDGPU.csdata,"",@progbits
; Kernel info:
; codeLenInByte = 2280
; TotalNumSgprs: 78
; NumVgprs: 25
; ScratchSize: 0
; MemoryBound: 0
; FloatMode: 240
; IeeeMode: 1
; LDSByteSize: 0 bytes/workgroup (compile time only)
; SGPRBlocks: 0
; VGPRBlocks: 3
; NumSGPRsForWavesPerEU: 78
; NumVGPRsForWavesPerEU: 25
; Occupancy: 16
; WaveLimiterHint : 0
; COMPUTE_PGM_RSRC2:SCRATCH_EN: 0
; COMPUTE_PGM_RSRC2:USER_SGPR: 2
; COMPUTE_PGM_RSRC2:TRAP_HANDLER: 0
; COMPUTE_PGM_RSRC2:TGID_X_EN: 1
; COMPUTE_PGM_RSRC2:TGID_Y_EN: 0
; COMPUTE_PGM_RSRC2:TGID_Z_EN: 0
; COMPUTE_PGM_RSRC2:TIDIG_COMP_CNT: 0
	.section	.text._ZN2at6native12_GLOBAL__N_128conv_depthwise3d_cuda_kernelIN3c104HalfEfLi3ELi3ELi3ELi1ELi1ELi1EEEvN5torch10headeronly6detail27GenericPackedTensorAccessorINS7_14TensorAccessorINS3_8ArrayRefIlEEKT_Lm4ENS6_16DefaultPtrTraitsEiEENS_6detail16IndexBoundsCheckILm5EiEESD_Lm5ESE_iEENS8_INS9_ISB_SC_Lm4ESE_iEESI_SC_Lm5ESE_iEESJ_PSD_iiiiiiiii,"axG",@progbits,_ZN2at6native12_GLOBAL__N_128conv_depthwise3d_cuda_kernelIN3c104HalfEfLi3ELi3ELi3ELi1ELi1ELi1EEEvN5torch10headeronly6detail27GenericPackedTensorAccessorINS7_14TensorAccessorINS3_8ArrayRefIlEEKT_Lm4ENS6_16DefaultPtrTraitsEiEENS_6detail16IndexBoundsCheckILm5EiEESD_Lm5ESE_iEENS8_INS9_ISB_SC_Lm4ESE_iEESI_SC_Lm5ESE_iEESJ_PSD_iiiiiiiii,comdat
	.globl	_ZN2at6native12_GLOBAL__N_128conv_depthwise3d_cuda_kernelIN3c104HalfEfLi3ELi3ELi3ELi1ELi1ELi1EEEvN5torch10headeronly6detail27GenericPackedTensorAccessorINS7_14TensorAccessorINS3_8ArrayRefIlEEKT_Lm4ENS6_16DefaultPtrTraitsEiEENS_6detail16IndexBoundsCheckILm5EiEESD_Lm5ESE_iEENS8_INS9_ISB_SC_Lm4ESE_iEESI_SC_Lm5ESE_iEESJ_PSD_iiiiiiiii ; -- Begin function _ZN2at6native12_GLOBAL__N_128conv_depthwise3d_cuda_kernelIN3c104HalfEfLi3ELi3ELi3ELi1ELi1ELi1EEEvN5torch10headeronly6detail27GenericPackedTensorAccessorINS7_14TensorAccessorINS3_8ArrayRefIlEEKT_Lm4ENS6_16DefaultPtrTraitsEiEENS_6detail16IndexBoundsCheckILm5EiEESD_Lm5ESE_iEENS8_INS9_ISB_SC_Lm4ESE_iEESI_SC_Lm5ESE_iEESJ_PSD_iiiiiiiii
	.p2align	8
	.type	_ZN2at6native12_GLOBAL__N_128conv_depthwise3d_cuda_kernelIN3c104HalfEfLi3ELi3ELi3ELi1ELi1ELi1EEEvN5torch10headeronly6detail27GenericPackedTensorAccessorINS7_14TensorAccessorINS3_8ArrayRefIlEEKT_Lm4ENS6_16DefaultPtrTraitsEiEENS_6detail16IndexBoundsCheckILm5EiEESD_Lm5ESE_iEENS8_INS9_ISB_SC_Lm4ESE_iEESI_SC_Lm5ESE_iEESJ_PSD_iiiiiiiii,@function
_ZN2at6native12_GLOBAL__N_128conv_depthwise3d_cuda_kernelIN3c104HalfEfLi3ELi3ELi3ELi1ELi1ELi1EEEvN5torch10headeronly6detail27GenericPackedTensorAccessorINS7_14TensorAccessorINS3_8ArrayRefIlEEKT_Lm4ENS6_16DefaultPtrTraitsEiEENS_6detail16IndexBoundsCheckILm5EiEESD_Lm5ESE_iEENS8_INS9_ISB_SC_Lm4ESE_iEESI_SC_Lm5ESE_iEESJ_PSD_iiiiiiiii: ; @_ZN2at6native12_GLOBAL__N_128conv_depthwise3d_cuda_kernelIN3c104HalfEfLi3ELi3ELi3ELi1ELi1ELi1EEEvN5torch10headeronly6detail27GenericPackedTensorAccessorINS7_14TensorAccessorINS3_8ArrayRefIlEEKT_Lm4ENS6_16DefaultPtrTraitsEiEENS_6detail16IndexBoundsCheckILm5EiEESD_Lm5ESE_iEENS8_INS9_ISB_SC_Lm4ESE_iEESI_SC_Lm5ESE_iEESJ_PSD_iiiiiiiii
; %bb.0:
	s_clause 0x3
	s_load_b128 s[16:19], s[0:1], 0xc
	s_load_b32 s2, s[0:1], 0xcc
	s_load_b64 s[34:35], s[0:1], 0x48
	s_load_b128 s[20:23], s[0:1], 0x38
	s_mov_b32 s15, 0
	s_mov_b32 s14, ttmp9
	s_mov_b32 s3, s15
	v_mov_b32_e32 v7, 0
	s_wait_kmcnt 0x0
	s_abs_i32 s4, s16
	s_and_b32 s2, s2, 0xffff
	s_cvt_f32_u32 s5, s4
	s_mul_u64 s[40:41], s[2:3], s[14:15]
	s_mul_i32 s42, s35, s20
	v_add_co_u32 v1, s3, s40, v0
	v_rcp_iflag_f32_e32 v3, s5
	v_add_co_ci_u32_e64 v2, null, s41, 0, s3
	s_ashr_i32 s43, s42, 31
	s_mov_b32 s5, exec_lo
	s_delay_alu instid0(TRANS32_DEP_1)
	v_readfirstlane_b32 s3, v3
	v_cmpx_gt_i64_e64 s[42:43], v[1:2]
	s_cbranch_execz .LBB6_59
; %bb.1:
	s_mul_f32 s3, s3, 0x4f7ffffe
	s_sub_co_i32 s5, 0, s4
	s_abs_i32 s14, s21
	s_mov_b32 s7, s15
	s_wait_alu 0xfffe
	s_cvt_u32_f32 s3, s3
	s_clause 0x2
	s_load_b64 s[44:45], s[0:1], 0x90
	s_load_b128 s[24:27], s[0:1], 0x98
	s_load_b64 s[46:47], s[0:1], 0xa8
	s_ashr_i32 s20, s21, 31
	s_add_nc_u64 s[8:9], s[0:1], 0xc0
	s_mul_i32 s5, s5, s3
	s_load_b32 s8, s[8:9], 0x0
	s_mul_hi_u32 s5, s3, s5
	s_clause 0x1
	s_load_b64 s[48:49], s[0:1], 0x0
	s_load_b128 s[28:31], s[0:1], 0x1c
	s_add_co_i32 s6, s3, s5
	s_ashr_i32 s3, s16, 31
	s_mul_u64 s[6:7], s[14:15], s[6:7]
	s_wait_alu 0xfffe
	s_xor_b32 s3, s20, s3
	s_mul_i32 s5, s7, s4
	s_add_co_i32 s6, s7, 1
	s_wait_alu 0xfffe
	s_sub_co_i32 s5, s14, s5
	s_load_b32 s16, s[0:1], 0x7c
	s_sub_co_i32 s10, s5, s4
	s_cmp_ge_u32 s5, s4
	s_clause 0x1
	s_load_b32 s60, s[0:1], 0x2c
	s_load_b64 s[50:51], s[0:1], 0x30
	s_cselect_b32 s6, s6, s7
	s_cselect_b32 s5, s10, s5
	s_add_co_i32 s7, s6, 1
	s_wait_alu 0xfffe
	s_cmp_ge_u32 s5, s4
	s_clause 0x1
	s_load_b64 s[52:53], s[0:1], 0x60
	s_load_b128 s[36:39], s[0:1], 0x50
	s_cselect_b32 s4, s7, s6
	s_add_co_i32 s6, s18, -3
	s_wait_alu 0xfffe
	s_xor_b32 s4, s4, s3
	s_mul_i32 s6, s19, s6
	s_ashr_i32 s5, s19, 31
	s_wait_alu 0xfffe
	s_sub_co_i32 s3, s4, s3
	s_ashr_i32 s7, s6, 31
	s_wait_kmcnt 0x0
	s_cmp_lg_u64 s[44:45], 0
	s_cvt_f32_u32 s10, s14
	s_cselect_b32 s33, -1, 0
	s_abs_i32 s58, s34
	s_abs_i32 s59, s23
	s_cvt_f32_u32 s4, s58
	s_cvt_f32_u32 s9, s59
	s_abs_i32 s61, s22
	s_wait_alu 0xfffe
	s_abs_i32 s64, s3
	v_rcp_iflag_f32_e32 v1, s4
	v_rcp_iflag_f32_e32 v2, s9
	s_cvt_f32_u32 s0, s61
	v_rcp_iflag_f32_e32 v3, s10
	s_cvt_f32_u32 s10, s64
	s_mul_i32 s62, s8, s2
	s_sub_co_i32 s8, 0, s58
	s_sub_co_i32 s9, 0, s59
	s_mov_b32 s4, s19
	s_ashr_i32 s63, s34, 31
	v_readfirstlane_b32 s1, v1
	v_rcp_iflag_f32_e32 v1, s0
	v_readfirstlane_b32 s0, v2
	s_ashr_i32 s66, s23, 31
	s_ashr_i32 s68, s22, 31
	s_mul_f32 s1, s1, 0x4f7ffffe
	s_ashr_i32 s71, s3, 31
	s_mul_f32 s0, s0, 0x4f7ffffe
	s_wait_alu 0xfffe
	s_mul_i32 s73, ttmp9, s2
	s_cvt_u32_f32 s1, s1
	s_lshl_b64 s[54:55], s[4:5], 1
	v_readfirstlane_b32 s11, v1
	v_rcp_iflag_f32_e32 v1, s10
	s_cvt_u32_f32 s0, s0
	s_wait_alu 0xfffe
	s_mul_i32 s8, s8, s1
	s_lshl_b64 s[56:57], s[6:7], 1
	s_wait_alu 0xfffe
	s_mul_hi_u32 s8, s1, s8
	s_mul_i32 s9, s9, s0
	s_mul_f32 s10, s11, 0x4f7ffffe
	s_wait_alu 0xfffe
	s_add_co_i32 s65, s1, s8
	s_mul_hi_u32 s1, s0, s9
	v_readfirstlane_b32 s9, v3
	s_wait_alu 0xfffe
	s_add_co_i32 s67, s0, s1
	v_readfirstlane_b32 s1, v1
	s_cvt_u32_f32 s8, s10
	s_sub_co_i32 s0, 0, s61
	s_mul_f32 s9, s9, 0x4f7ffffe
	s_wait_alu 0xfffe
	s_mul_i32 s0, s0, s8
	s_mul_f32 s1, s1, 0x4f7ffffe
	s_wait_alu 0xfffe
	s_mul_hi_u32 s0, s8, s0
	s_cvt_u32_f32 s9, s9
	s_wait_alu 0xfffe
	s_add_co_i32 s69, s8, s0
	s_sub_co_i32 s0, 0, s14
	s_cvt_u32_f32 s1, s1
	s_wait_alu 0xfffe
	s_mul_i32 s0, s0, s9
	s_sub_co_i32 s8, 0, s64
	s_wait_alu 0xfffe
	s_mul_hi_u32 s0, s9, s0
	s_mul_i32 s8, s8, s1
	s_wait_alu 0xfffe
	s_add_co_i32 s70, s9, s0
	s_mul_hi_u32 s0, s1, s8
	s_wait_alu 0xfffe
	s_add_co_i32 s72, s1, s0
	s_branch .LBB6_3
.LBB6_2:                                ;   in Loop: Header=BB6_3 Depth=1
	v_mul_lo_u32 v2, v9, s35
	v_mul_lo_u32 v4, s36, v1
	;; [unrolled: 1-line block ×5, first 2 shown]
	v_cvt_f16_f32_e32 v8, v12
	v_ashrrev_i32_e32 v3, 31, v2
	v_ashrrev_i32_e32 v5, 31, v4
	;; [unrolled: 1-line block ×4, first 2 shown]
	s_delay_alu instid0(VALU_DEP_4) | instskip(SKIP_2) | instid1(VALU_DEP_2)
	v_lshlrev_b64_e32 v[13:14], 1, v[2:3]
	v_ashrrev_i32_e32 v2, 31, v1
	v_lshlrev_b64_e32 v[3:4], 1, v[4:5]
	v_lshlrev_b64_e32 v[1:2], 1, v[1:2]
	s_delay_alu instid0(VALU_DEP_4) | instskip(SKIP_2) | instid1(VALU_DEP_2)
	v_add_co_u32 v5, vcc_lo, s50, v13
	s_wait_alu 0xfffd
	v_add_co_ci_u32_e64 v6, null, s51, v14, vcc_lo
	v_add_co_u32 v5, vcc_lo, v5, v3
	s_wait_alu 0xfffd
	s_delay_alu instid0(VALU_DEP_2) | instskip(SKIP_1) | instid1(VALU_DEP_3)
	v_add_co_ci_u32_e64 v6, null, v6, v4, vcc_lo
	v_lshlrev_b64_e32 v[3:4], 1, v[9:10]
	v_add_co_u32 v9, vcc_lo, v5, v1
	s_wait_alu 0xfffd
	s_delay_alu instid0(VALU_DEP_3) | instskip(SKIP_4) | instid1(VALU_DEP_3)
	v_add_co_ci_u32_e64 v10, null, v6, v2, vcc_lo
	v_add_co_u32 v0, vcc_lo, v0, s62
	s_wait_alu 0xfffd
	v_add_co_ci_u32_e64 v7, null, 0, v7, vcc_lo
	v_lshlrev_b64_e32 v[1:2], 1, v[11:12]
	v_add_co_u32 v5, vcc_lo, s40, v0
	s_wait_alu 0xfffd
	s_delay_alu instid0(VALU_DEP_3) | instskip(SKIP_3) | instid1(VALU_DEP_3)
	v_add_co_ci_u32_e64 v6, null, s41, v7, vcc_lo
	v_add_co_u32 v3, vcc_lo, v9, v3
	s_wait_alu 0xfffd
	v_add_co_ci_u32_e64 v4, null, v10, v4, vcc_lo
	v_cmp_le_i64_e32 vcc_lo, s[42:43], v[5:6]
	s_delay_alu instid0(VALU_DEP_3) | instskip(SKIP_1) | instid1(VALU_DEP_3)
	v_add_co_u32 v1, s0, v3, v1
	s_wait_alu 0xf1ff
	v_add_co_ci_u32_e64 v2, null, v4, v2, s0
	s_or_b32 s15, vcc_lo, s15
	global_store_b16 v[1:2], v8, off
	s_wait_alu 0xfffe
	s_and_not1_b32 exec_lo, exec_lo, s15
	s_cbranch_execz .LBB6_59
.LBB6_3:                                ; =>This Inner Loop Header: Depth=1
	v_add_nc_u32_e32 v2, s73, v0
	s_delay_alu instid0(VALU_DEP_1) | instskip(NEXT) | instid1(VALU_DEP_1)
	v_sub_nc_u32_e32 v1, 0, v2
	v_max_i32_e32 v1, v2, v1
	s_delay_alu instid0(VALU_DEP_1) | instskip(NEXT) | instid1(VALU_DEP_1)
	v_mul_hi_u32 v3, v1, s65
	v_mul_lo_u32 v4, v3, s58
	s_delay_alu instid0(VALU_DEP_1) | instskip(SKIP_1) | instid1(VALU_DEP_2)
	v_sub_nc_u32_e32 v1, v1, v4
	v_add_nc_u32_e32 v4, 1, v3
	v_subrev_nc_u32_e32 v5, s58, v1
	v_cmp_le_u32_e32 vcc_lo, s58, v1
	s_wait_alu 0xfffd
	s_delay_alu instid0(VALU_DEP_3) | instskip(NEXT) | instid1(VALU_DEP_3)
	v_cndmask_b32_e32 v3, v3, v4, vcc_lo
	v_cndmask_b32_e32 v1, v1, v5, vcc_lo
	v_ashrrev_i32_e32 v4, 31, v2
	s_delay_alu instid0(VALU_DEP_3) | instskip(NEXT) | instid1(VALU_DEP_3)
	v_add_nc_u32_e32 v5, 1, v3
	v_cmp_le_u32_e32 vcc_lo, s58, v1
	s_delay_alu instid0(VALU_DEP_3) | instskip(SKIP_1) | instid1(VALU_DEP_3)
	v_xor_b32_e32 v4, s63, v4
	s_wait_alu 0xfffd
	v_cndmask_b32_e32 v1, v3, v5, vcc_lo
	s_delay_alu instid0(VALU_DEP_1) | instskip(NEXT) | instid1(VALU_DEP_1)
	v_xor_b32_e32 v1, v1, v4
	v_sub_nc_u32_e32 v4, v1, v4
	s_delay_alu instid0(VALU_DEP_1) | instskip(NEXT) | instid1(VALU_DEP_1)
	v_sub_nc_u32_e32 v1, 0, v4
	v_max_i32_e32 v1, v4, v1
	s_delay_alu instid0(VALU_DEP_1) | instskip(NEXT) | instid1(VALU_DEP_1)
	v_mul_hi_u32 v3, v1, s67
	v_mul_lo_u32 v5, v3, s59
	s_delay_alu instid0(VALU_DEP_1) | instskip(SKIP_1) | instid1(VALU_DEP_2)
	v_sub_nc_u32_e32 v1, v1, v5
	v_add_nc_u32_e32 v5, 1, v3
	v_subrev_nc_u32_e32 v6, s59, v1
	v_cmp_le_u32_e32 vcc_lo, s59, v1
	s_wait_alu 0xfffd
	s_delay_alu instid0(VALU_DEP_3) | instskip(NEXT) | instid1(VALU_DEP_3)
	v_cndmask_b32_e32 v3, v3, v5, vcc_lo
	v_cndmask_b32_e32 v1, v1, v6, vcc_lo
	v_ashrrev_i32_e32 v5, 31, v4
	s_delay_alu instid0(VALU_DEP_3) | instskip(NEXT) | instid1(VALU_DEP_3)
	v_add_nc_u32_e32 v6, 1, v3
	v_cmp_le_u32_e32 vcc_lo, s59, v1
	s_delay_alu instid0(VALU_DEP_3) | instskip(SKIP_1) | instid1(VALU_DEP_3)
	v_xor_b32_e32 v5, s66, v5
	s_wait_alu 0xfffd
	v_cndmask_b32_e32 v1, v3, v6, vcc_lo
	s_delay_alu instid0(VALU_DEP_1) | instskip(NEXT) | instid1(VALU_DEP_1)
	v_xor_b32_e32 v1, v1, v5
	v_sub_nc_u32_e32 v5, v1, v5
	s_delay_alu instid0(VALU_DEP_1) | instskip(SKIP_1) | instid1(VALU_DEP_2)
	v_sub_nc_u32_e32 v1, 0, v5
	v_mul_lo_u32 v10, v5, s23
	v_max_i32_e32 v1, v5, v1
	s_delay_alu instid0(VALU_DEP_2) | instskip(NEXT) | instid1(VALU_DEP_2)
	v_sub_nc_u32_e32 v10, v4, v10
	v_mul_hi_u32 v3, v1, s69
	s_delay_alu instid0(VALU_DEP_2) | instskip(NEXT) | instid1(VALU_DEP_2)
	v_mul_lo_u32 v13, v10, s25
	v_mul_lo_u32 v6, v3, s61
	s_delay_alu instid0(VALU_DEP_1) | instskip(SKIP_1) | instid1(VALU_DEP_2)
	v_sub_nc_u32_e32 v1, v1, v6
	v_add_nc_u32_e32 v6, 1, v3
	v_subrev_nc_u32_e32 v8, s61, v1
	v_cmp_le_u32_e32 vcc_lo, s61, v1
	s_wait_alu 0xfffd
	s_delay_alu instid0(VALU_DEP_3) | instskip(NEXT) | instid1(VALU_DEP_3)
	v_cndmask_b32_e32 v3, v3, v6, vcc_lo
	v_cndmask_b32_e32 v1, v1, v8, vcc_lo
	v_ashrrev_i32_e32 v6, 31, v5
	s_delay_alu instid0(VALU_DEP_3) | instskip(NEXT) | instid1(VALU_DEP_3)
	v_add_nc_u32_e32 v8, 1, v3
	v_cmp_le_u32_e32 vcc_lo, s61, v1
	s_delay_alu instid0(VALU_DEP_3) | instskip(SKIP_1) | instid1(VALU_DEP_3)
	v_xor_b32_e32 v6, s68, v6
	s_wait_alu 0xfffd
	v_cndmask_b32_e32 v1, v3, v8, vcc_lo
	s_delay_alu instid0(VALU_DEP_1) | instskip(NEXT) | instid1(VALU_DEP_1)
	v_xor_b32_e32 v1, v1, v6
	v_sub_nc_u32_e32 v6, v1, v6
	s_delay_alu instid0(VALU_DEP_1) | instskip(NEXT) | instid1(VALU_DEP_1)
	v_sub_nc_u32_e32 v1, 0, v6
	v_max_i32_e32 v1, v6, v1
	s_delay_alu instid0(VALU_DEP_1) | instskip(NEXT) | instid1(VALU_DEP_1)
	v_mul_hi_u32 v3, v1, s70
	v_mul_lo_u32 v8, v3, s14
	s_delay_alu instid0(VALU_DEP_1) | instskip(SKIP_1) | instid1(VALU_DEP_2)
	v_sub_nc_u32_e32 v1, v1, v8
	v_add_nc_u32_e32 v8, 1, v3
	v_subrev_nc_u32_e32 v9, s14, v1
	v_cmp_le_u32_e32 vcc_lo, s14, v1
	s_wait_alu 0xfffd
	s_delay_alu instid0(VALU_DEP_3) | instskip(NEXT) | instid1(VALU_DEP_3)
	v_cndmask_b32_e32 v3, v3, v8, vcc_lo
	v_cndmask_b32_e32 v1, v1, v9, vcc_lo
	v_ashrrev_i32_e32 v8, 31, v6
	s_delay_alu instid0(VALU_DEP_3) | instskip(NEXT) | instid1(VALU_DEP_3)
	v_add_nc_u32_e32 v9, 1, v3
	v_cmp_le_u32_e32 vcc_lo, s14, v1
	s_delay_alu instid0(VALU_DEP_3) | instskip(SKIP_1) | instid1(VALU_DEP_3)
	v_xor_b32_e32 v8, s20, v8
	s_wait_alu 0xfffd
	v_cndmask_b32_e32 v1, v3, v9, vcc_lo
	v_mul_lo_u32 v3, v4, s34
	s_delay_alu instid0(VALU_DEP_2) | instskip(NEXT) | instid1(VALU_DEP_1)
	v_xor_b32_e32 v1, v1, v8
	v_sub_nc_u32_e32 v9, v1, v8
	s_delay_alu instid0(VALU_DEP_1) | instskip(NEXT) | instid1(VALU_DEP_1)
	v_mul_lo_u32 v1, v9, s21
	v_sub_nc_u32_e32 v1, v6, v1
	v_mul_lo_u32 v6, v6, s22
	s_delay_alu instid0(VALU_DEP_2) | instskip(NEXT) | instid1(VALU_DEP_1)
	v_sub_nc_u32_e32 v8, 0, v1
	v_max_i32_e32 v11, v1, v8
	v_sub_nc_u32_e32 v8, v2, v3
	s_delay_alu instid0(VALU_DEP_2) | instskip(NEXT) | instid1(VALU_DEP_2)
	v_mul_hi_u32 v2, v11, s72
	v_mul_lo_u32 v3, v8, s26
	s_delay_alu instid0(VALU_DEP_2) | instskip(SKIP_1) | instid1(VALU_DEP_3)
	v_mul_lo_u32 v12, v2, s64
	v_add_nc_u32_e32 v4, 1, v2
	v_subrev_nc_u32_e32 v15, s47, v3
	s_delay_alu instid0(VALU_DEP_1) | instskip(NEXT) | instid1(VALU_DEP_4)
	v_mul_lo_u32 v3, s60, v15
	v_sub_nc_u32_e32 v12, v11, v12
	v_sub_nc_u32_e32 v11, v5, v6
	v_cmp_lt_i32_e64 s0, -1, v15
	s_delay_alu instid0(VALU_DEP_3) | instskip(SKIP_2) | instid1(VALU_DEP_2)
	v_subrev_nc_u32_e32 v14, s64, v12
	v_cmp_le_u32_e32 vcc_lo, s64, v12
	s_wait_alu 0xfffd
	v_dual_cndmask_b32 v16, v2, v4 :: v_dual_cndmask_b32 v5, v12, v14
	v_ashrrev_i32_e32 v2, 31, v1
	v_ashrrev_i32_e32 v4, 31, v3
	v_mul_lo_u32 v12, v11, s24
	s_delay_alu instid0(VALU_DEP_4)
	v_add_nc_u32_e32 v6, 1, v16
	v_cmp_le_u32_e32 vcc_lo, s64, v5
	v_xor_b32_e32 v18, s71, v2
	v_subrev_nc_u32_e32 v14, s46, v13
	s_wait_alu 0xfffd
	v_cndmask_b32_e32 v6, v16, v6, vcc_lo
	v_lshlrev_b64_e32 v[16:17], 1, v[3:4]
	v_mul_lo_u32 v3, s28, v9
	v_subrev_nc_u32_e32 v13, s27, v12
	v_mul_lo_u32 v5, s31, v14
	v_xor_b32_e32 v19, v6, v18
	v_cmp_gt_i32_e64 s5, s18, v14
	v_cmp_gt_i32_e32 vcc_lo, s19, v15
	v_or_b32_e32 v12, v13, v14
	v_cmp_gt_i32_e64 s11, s17, v13
	v_sub_nc_u32_e32 v4, v19, v18
	v_mul_lo_u32 v18, s30, v13
	v_ashrrev_i32_e32 v6, 31, v5
	v_or_b32_e32 v22, v12, v15
	v_cmp_lt_i32_e64 s4, -1, v12
	v_mul_lo_u32 v20, s29, v4
	v_ashrrev_i32_e32 v4, 31, v3
	v_lshlrev_b64_e32 v[5:6], 1, v[5:6]
	v_cmp_lt_i32_e64 s1, -1, v22
	v_ashrrev_i32_e32 v19, 31, v18
	v_mul_lo_u32 v22, s16, v1
	v_lshlrev_b64_e32 v[3:4], 1, v[3:4]
	v_cmp_lt_i32_e64 s6, -1, v14
	v_ashrrev_i32_e32 v21, 31, v20
	v_lshlrev_b64_e32 v[18:19], 1, v[18:19]
	v_cmp_lt_i32_e64 s8, -1, v13
	v_add_co_u32 v3, s2, s48, v3
	s_delay_alu instid0(VALU_DEP_4)
	v_lshlrev_b64_e32 v[20:21], 1, v[20:21]
	s_wait_alu 0xf1ff
	v_add_co_ci_u32_e64 v4, null, s49, v4, s2
	s_and_b32 s2, s1, s11
	v_ashrrev_i32_e32 v23, 31, v22
	v_add_co_u32 v3, s1, v3, v20
	s_wait_alu 0xf1ff
	v_add_co_ci_u32_e64 v4, null, v4, v21, s1
	s_delay_alu instid0(VALU_DEP_2) | instskip(SKIP_1) | instid1(VALU_DEP_2)
	v_add_co_u32 v12, s1, v3, v18
	s_wait_alu 0xf1ff
	v_add_co_ci_u32_e64 v18, null, v4, v19, s1
	v_lshlrev_b64_e32 v[3:4], 1, v[22:23]
	s_delay_alu instid0(VALU_DEP_3) | instskip(SKIP_1) | instid1(VALU_DEP_3)
	v_add_co_u32 v5, s1, v12, v5
	s_wait_alu 0xf1ff
	v_add_co_ci_u32_e64 v6, null, v18, v6, s1
	v_mov_b32_e32 v12, 0
	s_delay_alu instid0(VALU_DEP_4)
	v_add_co_u32 v3, s1, s52, v3
	s_wait_alu 0xf1ff
	v_add_co_ci_u32_e64 v4, null, s53, v4, s1
	v_add_co_u32 v5, s1, v5, v16
	s_wait_alu 0xf1ff
	v_add_co_ci_u32_e64 v6, null, v6, v17, s1
	s_wait_alu 0xfffe
	s_and_b32 s1, s2, s5
	s_wait_alu 0xfffe
	s_and_b32 s2, s1, vcc_lo
	s_wait_alu 0xfffe
	s_and_saveexec_b32 s1, s2
	s_cbranch_execz .LBB6_5
; %bb.4:                                ;   in Loop: Header=BB6_3 Depth=1
	global_load_u16 v12, v[3:4], off
	global_load_u16 v16, v[5:6], off
	s_wait_loadcnt 0x0
	v_fma_mix_f32 v12, v12, v16, 0 op_sel_hi:[1,1,0]
.LBB6_5:                                ;   in Loop: Header=BB6_3 Depth=1
	s_wait_alu 0xfffe
	s_or_b32 exec_lo, exec_lo, s1
	v_cmp_lt_i32_e64 s1, -2, v15
	v_add_nc_u32_e32 v16, 1, v15
	s_and_b32 s3, s4, s1
	s_delay_alu instid0(VALU_DEP_1)
	v_cmp_gt_i32_e64 s2, s19, v16
	s_wait_alu 0xfffe
	s_and_b32 s3, s3, s11
	s_wait_alu 0xfffe
	s_and_b32 s3, s3, s5
	;; [unrolled: 2-line block ×3, first 2 shown]
	s_delay_alu instid0(SALU_CYCLE_1)
	s_and_saveexec_b32 s3, s7
	s_cbranch_execz .LBB6_7
; %bb.6:                                ;   in Loop: Header=BB6_3 Depth=1
	global_load_u16 v16, v[3:4], off offset:2
	global_load_u16 v17, v[5:6], off offset:2
	s_wait_loadcnt 0x0
	v_fma_mix_f32 v12, v16, v17, v12 op_sel_hi:[1,1,0]
.LBB6_7:                                ;   in Loop: Header=BB6_3 Depth=1
	s_wait_alu 0xfffe
	s_or_b32 exec_lo, exec_lo, s3
	v_cmp_lt_i32_e64 s3, -3, v15
	v_add_nc_u32_e32 v15, 2, v15
	s_and_b32 s7, s4, s3
	s_delay_alu instid0(VALU_DEP_1) | instskip(SKIP_1) | instid1(SALU_CYCLE_1)
	v_cmp_gt_i32_e64 s4, s19, v15
	s_and_b32 s7, s7, s11
	s_and_b32 s7, s7, s5
	s_delay_alu instid0(SALU_CYCLE_1)
	s_and_b32 s9, s7, s4
	s_wait_alu 0xfffe
	s_and_saveexec_b32 s7, s9
	s_cbranch_execz .LBB6_9
; %bb.8:                                ;   in Loop: Header=BB6_3 Depth=1
	global_load_u16 v15, v[3:4], off offset:4
	global_load_u16 v16, v[5:6], off offset:4
	s_wait_loadcnt 0x0
	v_fma_mix_f32 v12, v15, v16, v12 op_sel_hi:[1,1,0]
.LBB6_9:                                ;   in Loop: Header=BB6_3 Depth=1
	s_or_b32 exec_lo, exec_lo, s7
	v_cmp_lt_i32_e64 s9, -2, v14
	v_add_nc_u32_e32 v15, 1, v14
	s_and_b32 s12, s8, s9
	s_delay_alu instid0(VALU_DEP_1)
	v_cmp_gt_i32_e64 s7, s18, v15
	s_wait_alu 0xfffe
	s_and_b32 s10, s12, s0
	s_wait_alu 0xfffe
	s_and_b32 s13, s10, s11
	v_add_co_u32 v5, s10, v5, s54
	s_wait_alu 0xf1ff
	v_add_co_ci_u32_e64 v6, null, s55, v6, s10
	s_wait_alu 0xfffe
	s_and_b32 s10, s13, s7
	s_wait_alu 0xfffe
	s_and_b32 s13, s10, vcc_lo
	s_wait_alu 0xfffe
	s_and_saveexec_b32 s10, s13
	s_cbranch_execz .LBB6_11
; %bb.10:                               ;   in Loop: Header=BB6_3 Depth=1
	global_load_u16 v15, v[3:4], off offset:6
	global_load_u16 v16, v[5:6], off
	s_wait_loadcnt 0x0
	v_fma_mix_f32 v12, v15, v16, v12 op_sel_hi:[1,1,0]
.LBB6_11:                               ;   in Loop: Header=BB6_3 Depth=1
	s_wait_alu 0xfffe
	s_or_b32 exec_lo, exec_lo, s10
	s_and_b32 s10, s12, s1
	s_wait_alu 0xfffe
	s_and_b32 s10, s10, s11
	s_wait_alu 0xfffe
	;; [unrolled: 2-line block ×4, first 2 shown]
	s_and_saveexec_b32 s10, s13
	s_cbranch_execz .LBB6_13
; %bb.12:                               ;   in Loop: Header=BB6_3 Depth=1
	global_load_u16 v15, v[3:4], off offset:8
	global_load_u16 v16, v[5:6], off offset:2
	s_wait_loadcnt 0x0
	v_fma_mix_f32 v12, v15, v16, v12 op_sel_hi:[1,1,0]
.LBB6_13:                               ;   in Loop: Header=BB6_3 Depth=1
	s_wait_alu 0xfffe
	s_or_b32 exec_lo, exec_lo, s10
	s_and_b32 s10, s12, s3
	s_wait_alu 0xfffe
	s_and_b32 s10, s10, s11
	s_wait_alu 0xfffe
	;; [unrolled: 2-line block ×4, first 2 shown]
	s_and_saveexec_b32 s10, s12
	s_cbranch_execz .LBB6_15
; %bb.14:                               ;   in Loop: Header=BB6_3 Depth=1
	global_load_u16 v15, v[3:4], off offset:10
	global_load_u16 v16, v[5:6], off offset:4
	s_wait_loadcnt 0x0
	v_fma_mix_f32 v12, v15, v16, v12 op_sel_hi:[1,1,0]
.LBB6_15:                               ;   in Loop: Header=BB6_3 Depth=1
	s_wait_alu 0xfffe
	s_or_b32 exec_lo, exec_lo, s10
	v_cmp_lt_i32_e64 s10, -3, v14
	v_add_nc_u32_e32 v14, 2, v14
	s_and_b32 s13, s8, s10
	s_delay_alu instid0(VALU_DEP_1)
	v_cmp_gt_i32_e64 s8, s18, v14
	s_wait_alu 0xfffe
	s_and_b32 s12, s13, s0
	s_wait_alu 0xfffe
	s_and_b32 s74, s12, s11
	v_add_co_u32 v5, s12, v5, s54
	s_wait_alu 0xf1ff
	v_add_co_ci_u32_e64 v6, null, s55, v6, s12
	s_and_b32 s12, s74, s8
	s_wait_alu 0xfffe
	s_and_b32 s74, s12, vcc_lo
	s_delay_alu instid0(SALU_CYCLE_1)
	s_and_saveexec_b32 s12, s74
	s_cbranch_execz .LBB6_17
; %bb.16:                               ;   in Loop: Header=BB6_3 Depth=1
	global_load_u16 v14, v[3:4], off offset:12
	global_load_u16 v15, v[5:6], off
	s_wait_loadcnt 0x0
	v_fma_mix_f32 v12, v14, v15, v12 op_sel_hi:[1,1,0]
.LBB6_17:                               ;   in Loop: Header=BB6_3 Depth=1
	s_wait_alu 0xfffe
	s_or_b32 exec_lo, exec_lo, s12
	s_and_b32 s12, s13, s1
	s_wait_alu 0xfffe
	s_and_b32 s12, s12, s11
	s_wait_alu 0xfffe
	;; [unrolled: 2-line block ×3, first 2 shown]
	s_and_b32 s74, s12, s2
	s_delay_alu instid0(SALU_CYCLE_1)
	s_and_saveexec_b32 s12, s74
	s_cbranch_execz .LBB6_19
; %bb.18:                               ;   in Loop: Header=BB6_3 Depth=1
	global_load_u16 v14, v[3:4], off offset:14
	global_load_u16 v15, v[5:6], off offset:2
	s_wait_loadcnt 0x0
	v_fma_mix_f32 v12, v14, v15, v12 op_sel_hi:[1,1,0]
.LBB6_19:                               ;   in Loop: Header=BB6_3 Depth=1
	s_wait_alu 0xfffe
	s_or_b32 exec_lo, exec_lo, s12
	s_and_b32 s12, s13, s3
	s_wait_alu 0xfffe
	s_and_b32 s11, s12, s11
	s_wait_alu 0xfffe
	;; [unrolled: 2-line block ×4, first 2 shown]
	s_and_saveexec_b32 s11, s12
	s_cbranch_execz .LBB6_21
; %bb.20:                               ;   in Loop: Header=BB6_3 Depth=1
	global_load_u16 v14, v[3:4], off offset:16
	global_load_u16 v15, v[5:6], off offset:4
	s_wait_loadcnt 0x0
	v_fma_mix_f32 v12, v14, v15, v12 op_sel_hi:[1,1,0]
.LBB6_21:                               ;   in Loop: Header=BB6_3 Depth=1
	s_wait_alu 0xfffe
	s_or_b32 exec_lo, exec_lo, s11
	v_add_nc_u32_e32 v14, 1, v13
	v_cmp_lt_i32_e64 s12, -2, v13
	v_add_co_u32 v5, s13, v5, s54
	s_wait_alu 0xf1ff
	v_add_co_ci_u32_e64 v6, null, s55, v6, s13
	v_cmp_gt_i32_e64 s11, s17, v14
	s_and_b32 s74, s12, s6
	v_add_co_u32 v5, s13, v5, s56
	s_and_b32 s75, s74, s0
	v_add_co_ci_u32_e64 v6, null, s57, v6, s13
	s_and_b32 s75, s75, s11
	s_delay_alu instid0(SALU_CYCLE_1) | instskip(SKIP_2) | instid1(SALU_CYCLE_1)
	s_and_b32 s13, s75, s5
	s_wait_alu 0xfffe
	s_and_b32 s75, s13, vcc_lo
	s_and_saveexec_b32 s13, s75
	s_cbranch_execz .LBB6_23
; %bb.22:                               ;   in Loop: Header=BB6_3 Depth=1
	global_load_u16 v14, v[3:4], off offset:18
	global_load_u16 v15, v[5:6], off
	s_wait_loadcnt 0x0
	v_fma_mix_f32 v12, v14, v15, v12 op_sel_hi:[1,1,0]
.LBB6_23:                               ;   in Loop: Header=BB6_3 Depth=1
	s_wait_alu 0xfffe
	s_or_b32 exec_lo, exec_lo, s13
	s_and_b32 s13, s74, s1
	s_wait_alu 0xfffe
	s_and_b32 s13, s13, s11
	s_wait_alu 0xfffe
	;; [unrolled: 2-line block ×3, first 2 shown]
	s_and_b32 s75, s13, s2
	s_delay_alu instid0(SALU_CYCLE_1)
	s_and_saveexec_b32 s13, s75
	s_cbranch_execz .LBB6_25
; %bb.24:                               ;   in Loop: Header=BB6_3 Depth=1
	global_load_u16 v14, v[3:4], off offset:20
	global_load_u16 v15, v[5:6], off offset:2
	s_wait_loadcnt 0x0
	v_fma_mix_f32 v12, v14, v15, v12 op_sel_hi:[1,1,0]
.LBB6_25:                               ;   in Loop: Header=BB6_3 Depth=1
	s_wait_alu 0xfffe
	s_or_b32 exec_lo, exec_lo, s13
	s_and_b32 s13, s74, s3
	s_wait_alu 0xfffe
	s_and_b32 s13, s13, s11
	s_wait_alu 0xfffe
	;; [unrolled: 2-line block ×3, first 2 shown]
	s_and_b32 s74, s13, s4
	s_delay_alu instid0(SALU_CYCLE_1)
	s_and_saveexec_b32 s13, s74
	s_cbranch_execz .LBB6_27
; %bb.26:                               ;   in Loop: Header=BB6_3 Depth=1
	global_load_u16 v14, v[3:4], off offset:22
	global_load_u16 v15, v[5:6], off offset:4
	s_wait_loadcnt 0x0
	v_fma_mix_f32 v12, v14, v15, v12 op_sel_hi:[1,1,0]
.LBB6_27:                               ;   in Loop: Header=BB6_3 Depth=1
	s_wait_alu 0xfffe
	s_or_b32 exec_lo, exec_lo, s13
	s_and_b32 s74, s12, s9
	s_delay_alu instid0(SALU_CYCLE_1)
	s_and_b32 s13, s74, s0
	s_wait_alu 0xfffe
	s_and_b32 s75, s13, s11
	v_add_co_u32 v5, s13, v5, s54
	s_wait_alu 0xf1ff
	v_add_co_ci_u32_e64 v6, null, s55, v6, s13
	s_and_b32 s13, s75, s7
	s_wait_alu 0xfffe
	s_and_b32 s75, s13, vcc_lo
	s_delay_alu instid0(SALU_CYCLE_1)
	s_and_saveexec_b32 s13, s75
	s_cbranch_execz .LBB6_29
; %bb.28:                               ;   in Loop: Header=BB6_3 Depth=1
	global_load_u16 v14, v[3:4], off offset:24
	global_load_u16 v15, v[5:6], off
	s_wait_loadcnt 0x0
	v_fma_mix_f32 v12, v14, v15, v12 op_sel_hi:[1,1,0]
.LBB6_29:                               ;   in Loop: Header=BB6_3 Depth=1
	s_wait_alu 0xfffe
	s_or_b32 exec_lo, exec_lo, s13
	s_and_b32 s13, s74, s1
	s_wait_alu 0xfffe
	s_and_b32 s13, s13, s11
	s_wait_alu 0xfffe
	;; [unrolled: 2-line block ×3, first 2 shown]
	s_and_b32 s75, s13, s2
	s_delay_alu instid0(SALU_CYCLE_1)
	s_and_saveexec_b32 s13, s75
	s_cbranch_execz .LBB6_31
; %bb.30:                               ;   in Loop: Header=BB6_3 Depth=1
	global_load_u16 v14, v[3:4], off offset:26
	global_load_u16 v15, v[5:6], off offset:2
	s_wait_loadcnt 0x0
	v_fma_mix_f32 v12, v14, v15, v12 op_sel_hi:[1,1,0]
.LBB6_31:                               ;   in Loop: Header=BB6_3 Depth=1
	s_wait_alu 0xfffe
	s_or_b32 exec_lo, exec_lo, s13
	s_and_b32 s13, s74, s3
	s_wait_alu 0xfffe
	s_and_b32 s13, s13, s11
	s_wait_alu 0xfffe
	;; [unrolled: 2-line block ×3, first 2 shown]
	s_and_b32 s74, s13, s4
	s_delay_alu instid0(SALU_CYCLE_1)
	s_and_saveexec_b32 s13, s74
	s_cbranch_execz .LBB6_33
; %bb.32:                               ;   in Loop: Header=BB6_3 Depth=1
	global_load_u16 v14, v[3:4], off offset:28
	global_load_u16 v15, v[5:6], off offset:4
	s_wait_loadcnt 0x0
	v_fma_mix_f32 v12, v14, v15, v12 op_sel_hi:[1,1,0]
.LBB6_33:                               ;   in Loop: Header=BB6_3 Depth=1
	s_wait_alu 0xfffe
	s_or_b32 exec_lo, exec_lo, s13
	s_and_b32 s13, s12, s10
	s_wait_alu 0xfffe
	s_and_b32 s12, s13, s0
	s_wait_alu 0xfffe
	s_and_b32 s74, s12, s11
	v_add_co_u32 v5, s12, v5, s54
	s_wait_alu 0xf1ff
	v_add_co_ci_u32_e64 v6, null, s55, v6, s12
	s_and_b32 s12, s74, s8
	s_wait_alu 0xfffe
	s_and_b32 s74, s12, vcc_lo
	s_delay_alu instid0(SALU_CYCLE_1)
	s_and_saveexec_b32 s12, s74
	s_cbranch_execz .LBB6_35
; %bb.34:                               ;   in Loop: Header=BB6_3 Depth=1
	global_load_u16 v14, v[3:4], off offset:30
	global_load_u16 v15, v[5:6], off
	s_wait_loadcnt 0x0
	v_fma_mix_f32 v12, v14, v15, v12 op_sel_hi:[1,1,0]
.LBB6_35:                               ;   in Loop: Header=BB6_3 Depth=1
	s_wait_alu 0xfffe
	s_or_b32 exec_lo, exec_lo, s12
	s_and_b32 s12, s13, s1
	s_wait_alu 0xfffe
	s_and_b32 s12, s12, s11
	s_wait_alu 0xfffe
	;; [unrolled: 2-line block ×3, first 2 shown]
	s_and_b32 s74, s12, s2
	s_delay_alu instid0(SALU_CYCLE_1)
	s_and_saveexec_b32 s12, s74
	s_cbranch_execz .LBB6_37
; %bb.36:                               ;   in Loop: Header=BB6_3 Depth=1
	global_load_u16 v14, v[3:4], off offset:32
	global_load_u16 v15, v[5:6], off offset:2
	s_wait_loadcnt 0x0
	v_fma_mix_f32 v12, v14, v15, v12 op_sel_hi:[1,1,0]
.LBB6_37:                               ;   in Loop: Header=BB6_3 Depth=1
	s_wait_alu 0xfffe
	s_or_b32 exec_lo, exec_lo, s12
	s_and_b32 s12, s13, s3
	s_wait_alu 0xfffe
	s_and_b32 s11, s12, s11
	s_wait_alu 0xfffe
	;; [unrolled: 2-line block ×4, first 2 shown]
	s_and_saveexec_b32 s11, s12
	s_cbranch_execz .LBB6_39
; %bb.38:                               ;   in Loop: Header=BB6_3 Depth=1
	global_load_u16 v14, v[3:4], off offset:34
	global_load_u16 v15, v[5:6], off offset:4
	s_wait_loadcnt 0x0
	v_fma_mix_f32 v12, v14, v15, v12 op_sel_hi:[1,1,0]
.LBB6_39:                               ;   in Loop: Header=BB6_3 Depth=1
	s_wait_alu 0xfffe
	s_or_b32 exec_lo, exec_lo, s11
	v_cmp_lt_i32_e64 s11, -3, v13
	v_add_nc_u32_e32 v13, 2, v13
	v_add_co_u32 v5, s12, v5, s54
	s_wait_alu 0xf1ff
	v_add_co_ci_u32_e64 v6, null, s55, v6, s12
	s_and_b32 s13, s11, s6
	v_cmp_gt_i32_e64 s6, s17, v13
	s_wait_alu 0xfffe
	s_and_b32 s74, s13, s0
	v_add_co_u32 v5, s12, v5, s56
	s_wait_alu 0xf1ff
	v_add_co_ci_u32_e64 v6, null, s57, v6, s12
	s_and_b32 s74, s74, s6
	s_delay_alu instid0(SALU_CYCLE_1) | instskip(SKIP_2) | instid1(SALU_CYCLE_1)
	s_and_b32 s12, s74, s5
	s_wait_alu 0xfffe
	s_and_b32 s74, s12, vcc_lo
	s_and_saveexec_b32 s12, s74
	s_cbranch_execz .LBB6_41
; %bb.40:                               ;   in Loop: Header=BB6_3 Depth=1
	global_load_u16 v13, v[3:4], off offset:36
	global_load_u16 v14, v[5:6], off
	s_wait_loadcnt 0x0
	v_fma_mix_f32 v12, v13, v14, v12 op_sel_hi:[1,1,0]
.LBB6_41:                               ;   in Loop: Header=BB6_3 Depth=1
	s_wait_alu 0xfffe
	s_or_b32 exec_lo, exec_lo, s12
	s_and_b32 s12, s13, s1
	s_wait_alu 0xfffe
	s_and_b32 s12, s12, s6
	s_wait_alu 0xfffe
	;; [unrolled: 2-line block ×3, first 2 shown]
	s_and_b32 s74, s12, s2
	s_delay_alu instid0(SALU_CYCLE_1)
	s_and_saveexec_b32 s12, s74
	s_cbranch_execz .LBB6_43
; %bb.42:                               ;   in Loop: Header=BB6_3 Depth=1
	global_load_u16 v13, v[3:4], off offset:38
	global_load_u16 v14, v[5:6], off offset:2
	s_wait_loadcnt 0x0
	v_fma_mix_f32 v12, v13, v14, v12 op_sel_hi:[1,1,0]
.LBB6_43:                               ;   in Loop: Header=BB6_3 Depth=1
	s_wait_alu 0xfffe
	s_or_b32 exec_lo, exec_lo, s12
	s_and_b32 s12, s13, s3
	s_wait_alu 0xfffe
	s_and_b32 s12, s12, s6
	s_wait_alu 0xfffe
	;; [unrolled: 2-line block ×4, first 2 shown]
	s_and_saveexec_b32 s5, s12
	s_cbranch_execz .LBB6_45
; %bb.44:                               ;   in Loop: Header=BB6_3 Depth=1
	global_load_u16 v13, v[3:4], off offset:40
	global_load_u16 v14, v[5:6], off offset:4
	s_wait_loadcnt 0x0
	v_fma_mix_f32 v12, v13, v14, v12 op_sel_hi:[1,1,0]
.LBB6_45:                               ;   in Loop: Header=BB6_3 Depth=1
	s_wait_alu 0xfffe
	s_or_b32 exec_lo, exec_lo, s5
	s_and_b32 s9, s11, s9
	s_wait_alu 0xfffe
	s_and_b32 s5, s9, s0
	s_wait_alu 0xfffe
	s_and_b32 s12, s5, s6
	v_add_co_u32 v5, s5, v5, s54
	s_wait_alu 0xf1ff
	v_add_co_ci_u32_e64 v6, null, s55, v6, s5
	s_wait_alu 0xfffe
	s_and_b32 s5, s12, s7
	s_wait_alu 0xfffe
	s_and_b32 s12, s5, vcc_lo
	s_wait_alu 0xfffe
	s_and_saveexec_b32 s5, s12
	s_cbranch_execz .LBB6_47
; %bb.46:                               ;   in Loop: Header=BB6_3 Depth=1
	global_load_u16 v13, v[3:4], off offset:42
	global_load_u16 v14, v[5:6], off
	s_wait_loadcnt 0x0
	v_fma_mix_f32 v12, v13, v14, v12 op_sel_hi:[1,1,0]
.LBB6_47:                               ;   in Loop: Header=BB6_3 Depth=1
	s_wait_alu 0xfffe
	s_or_b32 exec_lo, exec_lo, s5
	s_and_b32 s5, s9, s1
	s_wait_alu 0xfffe
	s_and_b32 s5, s5, s6
	s_wait_alu 0xfffe
	;; [unrolled: 2-line block ×4, first 2 shown]
	s_and_saveexec_b32 s5, s12
	s_cbranch_execz .LBB6_49
; %bb.48:                               ;   in Loop: Header=BB6_3 Depth=1
	global_load_u16 v13, v[3:4], off offset:44
	global_load_u16 v14, v[5:6], off offset:2
	s_wait_loadcnt 0x0
	v_fma_mix_f32 v12, v13, v14, v12 op_sel_hi:[1,1,0]
.LBB6_49:                               ;   in Loop: Header=BB6_3 Depth=1
	s_wait_alu 0xfffe
	s_or_b32 exec_lo, exec_lo, s5
	s_and_b32 s5, s9, s3
	s_wait_alu 0xfffe
	s_and_b32 s5, s5, s6
	s_wait_alu 0xfffe
	;; [unrolled: 2-line block ×3, first 2 shown]
	s_and_b32 s7, s5, s4
	s_delay_alu instid0(SALU_CYCLE_1)
	s_and_saveexec_b32 s5, s7
	s_cbranch_execz .LBB6_51
; %bb.50:                               ;   in Loop: Header=BB6_3 Depth=1
	global_load_u16 v13, v[3:4], off offset:46
	global_load_u16 v14, v[5:6], off offset:4
	s_wait_loadcnt 0x0
	v_fma_mix_f32 v12, v13, v14, v12 op_sel_hi:[1,1,0]
.LBB6_51:                               ;   in Loop: Header=BB6_3 Depth=1
	s_wait_alu 0xfffe
	s_or_b32 exec_lo, exec_lo, s5
	s_and_b32 s5, s11, s10
	s_wait_alu 0xfffe
	s_and_b32 s0, s5, s0
	s_wait_alu 0xfffe
	s_and_b32 s7, s0, s6
	v_add_co_u32 v5, s0, v5, s54
	s_wait_alu 0xf1ff
	v_add_co_ci_u32_e64 v6, null, s55, v6, s0
	s_and_b32 s0, s7, s8
	s_wait_alu 0xfffe
	s_and_b32 s7, s0, vcc_lo
	s_delay_alu instid0(SALU_CYCLE_1)
	s_and_saveexec_b32 s0, s7
	s_cbranch_execz .LBB6_53
; %bb.52:                               ;   in Loop: Header=BB6_3 Depth=1
	global_load_u16 v13, v[3:4], off offset:48
	global_load_u16 v14, v[5:6], off
	s_wait_loadcnt 0x0
	v_fma_mix_f32 v12, v13, v14, v12 op_sel_hi:[1,1,0]
.LBB6_53:                               ;   in Loop: Header=BB6_3 Depth=1
	s_wait_alu 0xfffe
	s_or_b32 exec_lo, exec_lo, s0
	s_and_b32 s0, s5, s1
	s_wait_alu 0xfffe
	s_and_b32 s0, s0, s6
	s_wait_alu 0xfffe
	;; [unrolled: 2-line block ×4, first 2 shown]
	s_and_saveexec_b32 s0, s1
	s_cbranch_execz .LBB6_55
; %bb.54:                               ;   in Loop: Header=BB6_3 Depth=1
	global_load_u16 v13, v[3:4], off offset:50
	global_load_u16 v14, v[5:6], off offset:2
	s_wait_loadcnt 0x0
	v_fma_mix_f32 v12, v13, v14, v12 op_sel_hi:[1,1,0]
.LBB6_55:                               ;   in Loop: Header=BB6_3 Depth=1
	s_wait_alu 0xfffe
	s_or_b32 exec_lo, exec_lo, s0
	s_and_b32 s0, s5, s3
	s_wait_alu 0xfffe
	s_and_b32 s0, s0, s6
	s_wait_alu 0xfffe
	;; [unrolled: 2-line block ×4, first 2 shown]
	s_and_saveexec_b32 s0, s1
	s_cbranch_execz .LBB6_57
; %bb.56:                               ;   in Loop: Header=BB6_3 Depth=1
	global_load_u16 v3, v[3:4], off offset:52
	global_load_u16 v4, v[5:6], off offset:4
	s_wait_loadcnt 0x0
	v_fma_mix_f32 v12, v3, v4, v12 op_sel_hi:[1,1,0]
.LBB6_57:                               ;   in Loop: Header=BB6_3 Depth=1
	s_wait_alu 0xfffe
	s_or_b32 exec_lo, exec_lo, s0
	s_delay_alu instid0(SALU_CYCLE_1)
	s_and_not1_b32 vcc_lo, exec_lo, s33
	s_wait_alu 0xfffe
	s_cbranch_vccnz .LBB6_2
; %bb.58:                               ;   in Loop: Header=BB6_3 Depth=1
	v_lshlrev_b64_e32 v[2:3], 1, v[1:2]
	s_delay_alu instid0(VALU_DEP_1) | instskip(SKIP_1) | instid1(VALU_DEP_2)
	v_add_co_u32 v2, vcc_lo, s44, v2
	s_wait_alu 0xfffd
	v_add_co_ci_u32_e64 v3, null, s45, v3, vcc_lo
	global_load_u16 v2, v[2:3], off
	s_wait_loadcnt 0x0
	v_cvt_f32_f16_e32 v2, v2
	s_delay_alu instid0(VALU_DEP_1)
	v_add_f32_e32 v12, v12, v2
	s_branch .LBB6_2
.LBB6_59:
	s_endpgm
	.section	.rodata,"a",@progbits
	.p2align	6, 0x0
	.amdhsa_kernel _ZN2at6native12_GLOBAL__N_128conv_depthwise3d_cuda_kernelIN3c104HalfEfLi3ELi3ELi3ELi1ELi1ELi1EEEvN5torch10headeronly6detail27GenericPackedTensorAccessorINS7_14TensorAccessorINS3_8ArrayRefIlEEKT_Lm4ENS6_16DefaultPtrTraitsEiEENS_6detail16IndexBoundsCheckILm5EiEESD_Lm5ESE_iEENS8_INS9_ISB_SC_Lm4ESE_iEESI_SC_Lm5ESE_iEESJ_PSD_iiiiiiiii
		.amdhsa_group_segment_fixed_size 0
		.amdhsa_private_segment_fixed_size 0
		.amdhsa_kernarg_size 448
		.amdhsa_user_sgpr_count 2
		.amdhsa_user_sgpr_dispatch_ptr 0
		.amdhsa_user_sgpr_queue_ptr 0
		.amdhsa_user_sgpr_kernarg_segment_ptr 1
		.amdhsa_user_sgpr_dispatch_id 0
		.amdhsa_user_sgpr_private_segment_size 0
		.amdhsa_wavefront_size32 1
		.amdhsa_uses_dynamic_stack 0
		.amdhsa_enable_private_segment 0
		.amdhsa_system_sgpr_workgroup_id_x 1
		.amdhsa_system_sgpr_workgroup_id_y 0
		.amdhsa_system_sgpr_workgroup_id_z 0
		.amdhsa_system_sgpr_workgroup_info 0
		.amdhsa_system_vgpr_workitem_id 0
		.amdhsa_next_free_vgpr 24
		.amdhsa_next_free_sgpr 76
		.amdhsa_reserve_vcc 1
		.amdhsa_float_round_mode_32 0
		.amdhsa_float_round_mode_16_64 0
		.amdhsa_float_denorm_mode_32 3
		.amdhsa_float_denorm_mode_16_64 3
		.amdhsa_fp16_overflow 0
		.amdhsa_workgroup_processor_mode 1
		.amdhsa_memory_ordered 1
		.amdhsa_forward_progress 1
		.amdhsa_inst_pref_size 37
		.amdhsa_round_robin_scheduling 0
		.amdhsa_exception_fp_ieee_invalid_op 0
		.amdhsa_exception_fp_denorm_src 0
		.amdhsa_exception_fp_ieee_div_zero 0
		.amdhsa_exception_fp_ieee_overflow 0
		.amdhsa_exception_fp_ieee_underflow 0
		.amdhsa_exception_fp_ieee_inexact 0
		.amdhsa_exception_int_div_zero 0
	.end_amdhsa_kernel
	.section	.text._ZN2at6native12_GLOBAL__N_128conv_depthwise3d_cuda_kernelIN3c104HalfEfLi3ELi3ELi3ELi1ELi1ELi1EEEvN5torch10headeronly6detail27GenericPackedTensorAccessorINS7_14TensorAccessorINS3_8ArrayRefIlEEKT_Lm4ENS6_16DefaultPtrTraitsEiEENS_6detail16IndexBoundsCheckILm5EiEESD_Lm5ESE_iEENS8_INS9_ISB_SC_Lm4ESE_iEESI_SC_Lm5ESE_iEESJ_PSD_iiiiiiiii,"axG",@progbits,_ZN2at6native12_GLOBAL__N_128conv_depthwise3d_cuda_kernelIN3c104HalfEfLi3ELi3ELi3ELi1ELi1ELi1EEEvN5torch10headeronly6detail27GenericPackedTensorAccessorINS7_14TensorAccessorINS3_8ArrayRefIlEEKT_Lm4ENS6_16DefaultPtrTraitsEiEENS_6detail16IndexBoundsCheckILm5EiEESD_Lm5ESE_iEENS8_INS9_ISB_SC_Lm4ESE_iEESI_SC_Lm5ESE_iEESJ_PSD_iiiiiiiii,comdat
.Lfunc_end6:
	.size	_ZN2at6native12_GLOBAL__N_128conv_depthwise3d_cuda_kernelIN3c104HalfEfLi3ELi3ELi3ELi1ELi1ELi1EEEvN5torch10headeronly6detail27GenericPackedTensorAccessorINS7_14TensorAccessorINS3_8ArrayRefIlEEKT_Lm4ENS6_16DefaultPtrTraitsEiEENS_6detail16IndexBoundsCheckILm5EiEESD_Lm5ESE_iEENS8_INS9_ISB_SC_Lm4ESE_iEESI_SC_Lm5ESE_iEESJ_PSD_iiiiiiiii, .Lfunc_end6-_ZN2at6native12_GLOBAL__N_128conv_depthwise3d_cuda_kernelIN3c104HalfEfLi3ELi3ELi3ELi1ELi1ELi1EEEvN5torch10headeronly6detail27GenericPackedTensorAccessorINS7_14TensorAccessorINS3_8ArrayRefIlEEKT_Lm4ENS6_16DefaultPtrTraitsEiEENS_6detail16IndexBoundsCheckILm5EiEESD_Lm5ESE_iEENS8_INS9_ISB_SC_Lm4ESE_iEESI_SC_Lm5ESE_iEESJ_PSD_iiiiiiiii
                                        ; -- End function
	.set _ZN2at6native12_GLOBAL__N_128conv_depthwise3d_cuda_kernelIN3c104HalfEfLi3ELi3ELi3ELi1ELi1ELi1EEEvN5torch10headeronly6detail27GenericPackedTensorAccessorINS7_14TensorAccessorINS3_8ArrayRefIlEEKT_Lm4ENS6_16DefaultPtrTraitsEiEENS_6detail16IndexBoundsCheckILm5EiEESD_Lm5ESE_iEENS8_INS9_ISB_SC_Lm4ESE_iEESI_SC_Lm5ESE_iEESJ_PSD_iiiiiiiii.num_vgpr, 24
	.set _ZN2at6native12_GLOBAL__N_128conv_depthwise3d_cuda_kernelIN3c104HalfEfLi3ELi3ELi3ELi1ELi1ELi1EEEvN5torch10headeronly6detail27GenericPackedTensorAccessorINS7_14TensorAccessorINS3_8ArrayRefIlEEKT_Lm4ENS6_16DefaultPtrTraitsEiEENS_6detail16IndexBoundsCheckILm5EiEESD_Lm5ESE_iEENS8_INS9_ISB_SC_Lm4ESE_iEESI_SC_Lm5ESE_iEESJ_PSD_iiiiiiiii.num_agpr, 0
	.set _ZN2at6native12_GLOBAL__N_128conv_depthwise3d_cuda_kernelIN3c104HalfEfLi3ELi3ELi3ELi1ELi1ELi1EEEvN5torch10headeronly6detail27GenericPackedTensorAccessorINS7_14TensorAccessorINS3_8ArrayRefIlEEKT_Lm4ENS6_16DefaultPtrTraitsEiEENS_6detail16IndexBoundsCheckILm5EiEESD_Lm5ESE_iEENS8_INS9_ISB_SC_Lm4ESE_iEESI_SC_Lm5ESE_iEESJ_PSD_iiiiiiiii.numbered_sgpr, 76
	.set _ZN2at6native12_GLOBAL__N_128conv_depthwise3d_cuda_kernelIN3c104HalfEfLi3ELi3ELi3ELi1ELi1ELi1EEEvN5torch10headeronly6detail27GenericPackedTensorAccessorINS7_14TensorAccessorINS3_8ArrayRefIlEEKT_Lm4ENS6_16DefaultPtrTraitsEiEENS_6detail16IndexBoundsCheckILm5EiEESD_Lm5ESE_iEENS8_INS9_ISB_SC_Lm4ESE_iEESI_SC_Lm5ESE_iEESJ_PSD_iiiiiiiii.num_named_barrier, 0
	.set _ZN2at6native12_GLOBAL__N_128conv_depthwise3d_cuda_kernelIN3c104HalfEfLi3ELi3ELi3ELi1ELi1ELi1EEEvN5torch10headeronly6detail27GenericPackedTensorAccessorINS7_14TensorAccessorINS3_8ArrayRefIlEEKT_Lm4ENS6_16DefaultPtrTraitsEiEENS_6detail16IndexBoundsCheckILm5EiEESD_Lm5ESE_iEENS8_INS9_ISB_SC_Lm4ESE_iEESI_SC_Lm5ESE_iEESJ_PSD_iiiiiiiii.private_seg_size, 0
	.set _ZN2at6native12_GLOBAL__N_128conv_depthwise3d_cuda_kernelIN3c104HalfEfLi3ELi3ELi3ELi1ELi1ELi1EEEvN5torch10headeronly6detail27GenericPackedTensorAccessorINS7_14TensorAccessorINS3_8ArrayRefIlEEKT_Lm4ENS6_16DefaultPtrTraitsEiEENS_6detail16IndexBoundsCheckILm5EiEESD_Lm5ESE_iEENS8_INS9_ISB_SC_Lm4ESE_iEESI_SC_Lm5ESE_iEESJ_PSD_iiiiiiiii.uses_vcc, 1
	.set _ZN2at6native12_GLOBAL__N_128conv_depthwise3d_cuda_kernelIN3c104HalfEfLi3ELi3ELi3ELi1ELi1ELi1EEEvN5torch10headeronly6detail27GenericPackedTensorAccessorINS7_14TensorAccessorINS3_8ArrayRefIlEEKT_Lm4ENS6_16DefaultPtrTraitsEiEENS_6detail16IndexBoundsCheckILm5EiEESD_Lm5ESE_iEENS8_INS9_ISB_SC_Lm4ESE_iEESI_SC_Lm5ESE_iEESJ_PSD_iiiiiiiii.uses_flat_scratch, 0
	.set _ZN2at6native12_GLOBAL__N_128conv_depthwise3d_cuda_kernelIN3c104HalfEfLi3ELi3ELi3ELi1ELi1ELi1EEEvN5torch10headeronly6detail27GenericPackedTensorAccessorINS7_14TensorAccessorINS3_8ArrayRefIlEEKT_Lm4ENS6_16DefaultPtrTraitsEiEENS_6detail16IndexBoundsCheckILm5EiEESD_Lm5ESE_iEENS8_INS9_ISB_SC_Lm4ESE_iEESI_SC_Lm5ESE_iEESJ_PSD_iiiiiiiii.has_dyn_sized_stack, 0
	.set _ZN2at6native12_GLOBAL__N_128conv_depthwise3d_cuda_kernelIN3c104HalfEfLi3ELi3ELi3ELi1ELi1ELi1EEEvN5torch10headeronly6detail27GenericPackedTensorAccessorINS7_14TensorAccessorINS3_8ArrayRefIlEEKT_Lm4ENS6_16DefaultPtrTraitsEiEENS_6detail16IndexBoundsCheckILm5EiEESD_Lm5ESE_iEENS8_INS9_ISB_SC_Lm4ESE_iEESI_SC_Lm5ESE_iEESJ_PSD_iiiiiiiii.has_recursion, 0
	.set _ZN2at6native12_GLOBAL__N_128conv_depthwise3d_cuda_kernelIN3c104HalfEfLi3ELi3ELi3ELi1ELi1ELi1EEEvN5torch10headeronly6detail27GenericPackedTensorAccessorINS7_14TensorAccessorINS3_8ArrayRefIlEEKT_Lm4ENS6_16DefaultPtrTraitsEiEENS_6detail16IndexBoundsCheckILm5EiEESD_Lm5ESE_iEENS8_INS9_ISB_SC_Lm4ESE_iEESI_SC_Lm5ESE_iEESJ_PSD_iiiiiiiii.has_indirect_call, 0
	.section	.AMDGPU.csdata,"",@progbits
; Kernel info:
; codeLenInByte = 4624
; TotalNumSgprs: 78
; NumVgprs: 24
; ScratchSize: 0
; MemoryBound: 0
; FloatMode: 240
; IeeeMode: 1
; LDSByteSize: 0 bytes/workgroup (compile time only)
; SGPRBlocks: 0
; VGPRBlocks: 2
; NumSGPRsForWavesPerEU: 78
; NumVGPRsForWavesPerEU: 24
; Occupancy: 16
; WaveLimiterHint : 0
; COMPUTE_PGM_RSRC2:SCRATCH_EN: 0
; COMPUTE_PGM_RSRC2:USER_SGPR: 2
; COMPUTE_PGM_RSRC2:TRAP_HANDLER: 0
; COMPUTE_PGM_RSRC2:TGID_X_EN: 1
; COMPUTE_PGM_RSRC2:TGID_Y_EN: 0
; COMPUTE_PGM_RSRC2:TGID_Z_EN: 0
; COMPUTE_PGM_RSRC2:TIDIG_COMP_CNT: 0
	.section	.text._ZN2at6native12_GLOBAL__N_128conv_depthwise3d_cuda_kernelIN3c104HalfEfLin1ELin1ELin1ELi1ELi1ELi1EEEvN5torch10headeronly6detail27GenericPackedTensorAccessorINS7_14TensorAccessorINS3_8ArrayRefIlEEKT_Lm4ENS6_16DefaultPtrTraitsEiEENS_6detail16IndexBoundsCheckILm5EiEESD_Lm5ESE_iEENS8_INS9_ISB_SC_Lm4ESE_iEESI_SC_Lm5ESE_iEESJ_PSD_iiiiiiiii,"axG",@progbits,_ZN2at6native12_GLOBAL__N_128conv_depthwise3d_cuda_kernelIN3c104HalfEfLin1ELin1ELin1ELi1ELi1ELi1EEEvN5torch10headeronly6detail27GenericPackedTensorAccessorINS7_14TensorAccessorINS3_8ArrayRefIlEEKT_Lm4ENS6_16DefaultPtrTraitsEiEENS_6detail16IndexBoundsCheckILm5EiEESD_Lm5ESE_iEENS8_INS9_ISB_SC_Lm4ESE_iEESI_SC_Lm5ESE_iEESJ_PSD_iiiiiiiii,comdat
	.globl	_ZN2at6native12_GLOBAL__N_128conv_depthwise3d_cuda_kernelIN3c104HalfEfLin1ELin1ELin1ELi1ELi1ELi1EEEvN5torch10headeronly6detail27GenericPackedTensorAccessorINS7_14TensorAccessorINS3_8ArrayRefIlEEKT_Lm4ENS6_16DefaultPtrTraitsEiEENS_6detail16IndexBoundsCheckILm5EiEESD_Lm5ESE_iEENS8_INS9_ISB_SC_Lm4ESE_iEESI_SC_Lm5ESE_iEESJ_PSD_iiiiiiiii ; -- Begin function _ZN2at6native12_GLOBAL__N_128conv_depthwise3d_cuda_kernelIN3c104HalfEfLin1ELin1ELin1ELi1ELi1ELi1EEEvN5torch10headeronly6detail27GenericPackedTensorAccessorINS7_14TensorAccessorINS3_8ArrayRefIlEEKT_Lm4ENS6_16DefaultPtrTraitsEiEENS_6detail16IndexBoundsCheckILm5EiEESD_Lm5ESE_iEENS8_INS9_ISB_SC_Lm4ESE_iEESI_SC_Lm5ESE_iEESJ_PSD_iiiiiiiii
	.p2align	8
	.type	_ZN2at6native12_GLOBAL__N_128conv_depthwise3d_cuda_kernelIN3c104HalfEfLin1ELin1ELin1ELi1ELi1ELi1EEEvN5torch10headeronly6detail27GenericPackedTensorAccessorINS7_14TensorAccessorINS3_8ArrayRefIlEEKT_Lm4ENS6_16DefaultPtrTraitsEiEENS_6detail16IndexBoundsCheckILm5EiEESD_Lm5ESE_iEENS8_INS9_ISB_SC_Lm4ESE_iEESI_SC_Lm5ESE_iEESJ_PSD_iiiiiiiii,@function
_ZN2at6native12_GLOBAL__N_128conv_depthwise3d_cuda_kernelIN3c104HalfEfLin1ELin1ELin1ELi1ELi1ELi1EEEvN5torch10headeronly6detail27GenericPackedTensorAccessorINS7_14TensorAccessorINS3_8ArrayRefIlEEKT_Lm4ENS6_16DefaultPtrTraitsEiEENS_6detail16IndexBoundsCheckILm5EiEESD_Lm5ESE_iEENS8_INS9_ISB_SC_Lm4ESE_iEESI_SC_Lm5ESE_iEESJ_PSD_iiiiiiiii: ; @_ZN2at6native12_GLOBAL__N_128conv_depthwise3d_cuda_kernelIN3c104HalfEfLin1ELin1ELin1ELi1ELi1ELi1EEEvN5torch10headeronly6detail27GenericPackedTensorAccessorINS7_14TensorAccessorINS3_8ArrayRefIlEEKT_Lm4ENS6_16DefaultPtrTraitsEiEENS_6detail16IndexBoundsCheckILm5EiEESD_Lm5ESE_iEENS8_INS9_ISB_SC_Lm4ESE_iEESI_SC_Lm5ESE_iEESJ_PSD_iiiiiiiii
; %bb.0:
	s_clause 0x3
	s_load_b128 s[4:7], s[0:1], 0xc
	s_load_b32 s2, s[0:1], 0xcc
	s_load_b64 s[28:29], s[0:1], 0x48
	s_load_b128 s[8:11], s[0:1], 0x38
	v_mov_b32_e32 v1, 0
	s_wait_kmcnt 0x0
	s_abs_i32 s16, s4
	s_and_b32 s2, s2, 0xffff
	s_cvt_f32_u32 s3, s16
	v_mad_co_u64_u32 v[0:1], null, s2, ttmp9, v[0:1]
	s_mul_i32 s30, s29, s8
	s_delay_alu instid0(SALU_CYCLE_1) | instskip(SKIP_2) | instid1(TRANS32_DEP_1)
	v_rcp_iflag_f32_e32 v2, s3
	s_ashr_i32 s31, s30, 31
	s_mov_b32 s8, exec_lo
	v_readfirstlane_b32 s3, v2
	v_cmpx_gt_i64_e64 s[30:31], v[0:1]
	s_cbranch_execz .LBB7_17
; %bb.1:
	s_mul_f32 s3, s3, 0x4f7ffffe
	s_sub_co_i32 s8, 0, s16
	s_mov_b32 s35, 0
	s_abs_i32 s34, s9
	s_wait_alu 0xfffe
	s_cvt_u32_f32 s3, s3
	s_mov_b32 s13, s35
	s_ashr_i32 s4, s4, 31
	s_add_nc_u64 s[24:25], s[0:1], 0xc0
	s_wait_alu 0xfffe
	s_mul_i32 s8, s8, s3
	s_load_b64 s[36:37], s[0:1], 0x90
	s_mul_hi_u32 s8, s3, s8
	s_delay_alu instid0(SALU_CYCLE_1)
	s_add_co_i32 s12, s3, s8
	s_ashr_i32 s3, s9, 31
	s_mul_u64 s[18:19], s[34:35], s[12:13]
	s_load_b128 s[12:15], s[0:1], 0x70
	s_mul_i32 s8, s19, s16
	s_xor_b32 s4, s3, s4
	s_sub_co_i32 s8, s34, s8
	s_add_co_i32 s17, s19, 1
	s_sub_co_i32 s18, s8, s16
	s_cmp_ge_u32 s8, s16
	s_cselect_b32 s17, s17, s19
	s_cselect_b32 s8, s18, s8
	s_add_co_i32 s18, s17, 1
	s_cmp_ge_u32 s8, s16
	s_cselect_b32 s8, s18, s17
	s_clause 0x1
	s_load_b128 s[16:19], s[0:1], 0x98
	s_load_b64 s[38:39], s[0:1], 0xa8
	s_xor_b32 s8, s8, s4
	s_clause 0x1
	s_load_b64 s[40:41], s[0:1], 0x0
	s_load_b128 s[20:23], s[0:1], 0x1c
	s_sub_co_i32 s64, s8, s4
	s_load_b32 s55, s[24:25], 0x0
	s_cvt_f32_u32 s24, s34
	s_wait_kmcnt 0x0
	s_cmp_gt_i32 s12, 0
	s_clause 0x1
	s_load_b32 s53, s[0:1], 0x2c
	s_load_b64 s[42:43], s[0:1], 0x30
	s_cselect_b32 s4, -1, 0
	s_cmp_gt_i32 s13, 0
	v_rcp_iflag_f32_e32 v2, s24
	s_cselect_b32 s8, -1, 0
	s_cmp_gt_i32 s14, 0
	s_cselect_b32 s33, -1, 0
	s_sub_co_i32 s25, s6, s13
	s_sub_co_i32 s46, s7, s14
	s_wait_alu 0xfffe
	s_mul_i32 s48, s7, s25
	s_ashr_i32 s47, s46, 31
	s_ashr_i32 s49, s48, 31
	s_cmp_lg_u64 s[36:37], 0
	s_cselect_b32 s50, -1, 0
	s_abs_i32 s51, s28
	s_abs_i32 s52, s11
	s_cvt_f32_u32 s24, s51
	s_cvt_f32_u32 s25, s52
	s_abs_i32 s54, s10
	s_abs_i32 s58, s64
	s_wait_alu 0xfffe
	v_rcp_iflag_f32_e32 v3, s24
	v_rcp_iflag_f32_e32 v4, s25
	s_cvt_f32_u32 s56, s54
	s_clause 0x1
	s_load_b64 s[44:45], s[0:1], 0x60
	s_load_b128 s[24:27], s[0:1], 0x50
	v_readfirstlane_b32 s0, v2
	s_mul_i32 s55, s55, s2
	v_rcp_iflag_f32_e32 v2, s56
	s_cvt_f32_u32 s60, s58
	s_sub_co_i32 s59, 0, s51
	s_sub_co_i32 s62, 0, s52
	v_readfirstlane_b32 s1, v3
	v_readfirstlane_b32 s2, v4
	s_mul_f32 s0, s0, 0x4f7ffffe
	s_sub_co_i32 s65, 0, s34
	s_ashr_i32 s56, s28, 31
	s_mul_f32 s1, s1, 0x4f7ffffe
	s_mul_f32 s2, s2, 0x4f7ffffe
	v_readfirstlane_b32 s61, v2
	v_rcp_iflag_f32_e32 v2, s60
	s_wait_alu 0xfffe
	s_cvt_u32_f32 s1, s1
	s_cvt_u32_f32 s2, s2
	s_cvt_u32_f32 s0, s0
	s_mul_f32 s61, s61, 0x4f7ffffe
	s_wait_alu 0xfffe
	s_mul_i32 s59, s59, s1
	s_mul_i32 s62, s62, s2
	s_mul_hi_u32 s59, s1, s59
	s_mul_hi_u32 s60, s2, s62
	s_add_co_i32 s59, s1, s59
	v_readfirstlane_b32 s62, v2
	s_cvt_u32_f32 s1, s61
	s_wait_alu 0xfffe
	s_add_co_i32 s60, s2, s60
	s_sub_co_i32 s2, 0, s54
	s_mul_i32 s65, s65, s0
	s_wait_alu 0xfffe
	s_mul_i32 s2, s2, s1
	s_mul_f32 s63, s62, 0x4f7ffffe
	s_wait_alu 0xfffe
	s_mul_hi_u32 s2, s1, s2
	s_ashr_i32 s57, s11, 31
	s_wait_alu 0xfffe
	s_add_co_i32 s62, s1, s2
	s_cvt_u32_f32 s1, s63
	s_mul_hi_u32 s2, s0, s65
	s_sub_co_i32 s65, 0, s58
	s_wait_alu 0xfffe
	s_add_co_i32 s63, s0, s2
	s_mul_i32 s65, s65, s1
	s_ashr_i32 s61, s10, 31
	s_mul_hi_u32 s0, s1, s65
	s_ashr_i32 s64, s64, 31
	s_wait_alu 0xfffe
	s_add_co_i32 s65, s1, s0
	s_lshl_b64 s[46:47], s[46:47], 1
	s_lshl_b64 s[48:49], s[48:49], 1
	s_branch .LBB7_3
.LBB7_2:                                ;   in Loop: Header=BB7_3 Depth=1
	v_mul_lo_u32 v3, v11, s29
	s_wait_kmcnt 0x0
	v_mul_lo_u32 v5, s24, v2
	v_mul_lo_u32 v2, s25, v10
	;; [unrolled: 1-line block ×3, first 2 shown]
	v_add_co_u32 v0, vcc_lo, v0, s55
	s_wait_alu 0xfffd
	v_add_co_ci_u32_e64 v1, null, 0, v1, vcc_lo
	v_ashrrev_i32_e32 v4, 31, v3
	v_ashrrev_i32_e32 v6, 31, v5
	v_mul_lo_u32 v9, s27, v8
	v_ashrrev_i32_e32 v8, 31, v7
	v_cvt_f16_f32_e32 v13, v14
	v_lshlrev_b64_e32 v[11:12], 1, v[3:4]
	v_ashrrev_i32_e32 v3, 31, v2
	v_lshlrev_b64_e32 v[4:5], 1, v[5:6]
	v_ashrrev_i32_e32 v10, 31, v9
	s_delay_alu instid0(VALU_DEP_4) | instskip(SKIP_3) | instid1(VALU_DEP_3)
	v_add_co_u32 v6, vcc_lo, s42, v11
	s_wait_alu 0xfffd
	v_add_co_ci_u32_e64 v11, null, s43, v12, vcc_lo
	v_lshlrev_b64_e32 v[2:3], 1, v[2:3]
	v_add_co_u32 v6, vcc_lo, v6, v4
	s_wait_alu 0xfffd
	s_delay_alu instid0(VALU_DEP_3) | instskip(SKIP_1) | instid1(VALU_DEP_3)
	v_add_co_ci_u32_e64 v11, null, v11, v5, vcc_lo
	v_lshlrev_b64_e32 v[4:5], 1, v[7:8]
	v_add_co_u32 v6, vcc_lo, v6, v2
	s_wait_alu 0xfffd
	s_delay_alu instid0(VALU_DEP_3) | instskip(SKIP_1) | instid1(VALU_DEP_3)
	;; [unrolled: 5-line block ×3, first 2 shown]
	v_add_co_ci_u32_e64 v5, null, v7, v5, vcc_lo
	v_cmp_le_i64_e32 vcc_lo, s[30:31], v[0:1]
	v_add_co_u32 v2, s0, v4, v2
	s_wait_alu 0xf1ff
	s_delay_alu instid0(VALU_DEP_3)
	v_add_co_ci_u32_e64 v3, null, v5, v3, s0
	s_or_b32 s35, vcc_lo, s35
	global_store_b16 v[2:3], v13, off
	s_wait_alu 0xfffe
	s_and_not1_b32 exec_lo, exec_lo, s35
	s_cbranch_execz .LBB7_17
.LBB7_3:                                ; =>This Loop Header: Depth=1
                                        ;     Child Loop BB7_6 Depth 2
                                        ;       Child Loop BB7_9 Depth 3
                                        ;         Child Loop BB7_12 Depth 4
	v_sub_nc_u32_e32 v2, 0, v0
	s_delay_alu instid0(VALU_DEP_1) | instskip(NEXT) | instid1(VALU_DEP_1)
	v_max_i32_e32 v2, v0, v2
	v_mul_hi_u32 v3, v2, s59
	s_delay_alu instid0(VALU_DEP_1) | instskip(NEXT) | instid1(VALU_DEP_1)
	v_mul_lo_u32 v4, v3, s51
	v_sub_nc_u32_e32 v2, v2, v4
	v_add_nc_u32_e32 v4, 1, v3
	s_delay_alu instid0(VALU_DEP_2) | instskip(SKIP_2) | instid1(VALU_DEP_2)
	v_subrev_nc_u32_e32 v5, s51, v2
	v_cmp_le_u32_e32 vcc_lo, s51, v2
	s_wait_alu 0xfffd
	v_dual_cndmask_b32 v3, v3, v4 :: v_dual_cndmask_b32 v2, v2, v5
	v_ashrrev_i32_e32 v4, 31, v0
	s_delay_alu instid0(VALU_DEP_2) | instskip(NEXT) | instid1(VALU_DEP_3)
	v_add_nc_u32_e32 v5, 1, v3
	v_cmp_le_u32_e32 vcc_lo, s51, v2
	s_delay_alu instid0(VALU_DEP_3) | instskip(SKIP_1) | instid1(VALU_DEP_3)
	v_xor_b32_e32 v4, s56, v4
	s_wait_alu 0xfffd
	v_cndmask_b32_e32 v2, v3, v5, vcc_lo
	s_delay_alu instid0(VALU_DEP_1) | instskip(NEXT) | instid1(VALU_DEP_1)
	v_xor_b32_e32 v2, v2, v4
	v_sub_nc_u32_e32 v3, v2, v4
	s_delay_alu instid0(VALU_DEP_1) | instskip(NEXT) | instid1(VALU_DEP_1)
	v_sub_nc_u32_e32 v2, 0, v3
	v_max_i32_e32 v2, v3, v2
	s_delay_alu instid0(VALU_DEP_1) | instskip(NEXT) | instid1(VALU_DEP_1)
	v_mul_hi_u32 v4, v2, s60
	v_mul_lo_u32 v5, v4, s52
	s_delay_alu instid0(VALU_DEP_1) | instskip(SKIP_1) | instid1(VALU_DEP_2)
	v_sub_nc_u32_e32 v2, v2, v5
	v_add_nc_u32_e32 v5, 1, v4
	v_subrev_nc_u32_e32 v6, s52, v2
	v_cmp_le_u32_e32 vcc_lo, s52, v2
	s_wait_alu 0xfffd
	s_delay_alu instid0(VALU_DEP_3) | instskip(NEXT) | instid1(VALU_DEP_3)
	v_cndmask_b32_e32 v4, v4, v5, vcc_lo
	v_cndmask_b32_e32 v2, v2, v6, vcc_lo
	v_ashrrev_i32_e32 v5, 31, v3
	s_delay_alu instid0(VALU_DEP_3) | instskip(NEXT) | instid1(VALU_DEP_3)
	v_add_nc_u32_e32 v6, 1, v4
	v_cmp_le_u32_e32 vcc_lo, s52, v2
	s_delay_alu instid0(VALU_DEP_3) | instskip(SKIP_1) | instid1(VALU_DEP_3)
	v_xor_b32_e32 v5, s57, v5
	s_wait_alu 0xfffd
	v_cndmask_b32_e32 v2, v4, v6, vcc_lo
	s_delay_alu instid0(VALU_DEP_1) | instskip(NEXT) | instid1(VALU_DEP_1)
	v_xor_b32_e32 v2, v2, v5
	v_sub_nc_u32_e32 v4, v2, v5
	s_delay_alu instid0(VALU_DEP_1) | instskip(NEXT) | instid1(VALU_DEP_1)
	v_sub_nc_u32_e32 v2, 0, v4
	v_max_i32_e32 v2, v4, v2
	s_delay_alu instid0(VALU_DEP_1) | instskip(NEXT) | instid1(VALU_DEP_1)
	v_mul_hi_u32 v5, v2, s62
	v_mul_lo_u32 v6, v5, s54
	s_delay_alu instid0(VALU_DEP_1) | instskip(SKIP_1) | instid1(VALU_DEP_2)
	v_sub_nc_u32_e32 v2, v2, v6
	v_add_nc_u32_e32 v6, 1, v5
	v_subrev_nc_u32_e32 v7, s54, v2
	v_cmp_le_u32_e32 vcc_lo, s54, v2
	s_wait_alu 0xfffd
	s_delay_alu instid0(VALU_DEP_2) | instskip(SKIP_1) | instid1(VALU_DEP_2)
	v_dual_cndmask_b32 v5, v5, v6 :: v_dual_cndmask_b32 v2, v2, v7
	v_ashrrev_i32_e32 v6, 31, v4
	v_add_nc_u32_e32 v7, 1, v5
	s_delay_alu instid0(VALU_DEP_3) | instskip(NEXT) | instid1(VALU_DEP_3)
	v_cmp_le_u32_e32 vcc_lo, s54, v2
	v_xor_b32_e32 v6, s61, v6
	s_wait_alu 0xfffd
	s_delay_alu instid0(VALU_DEP_3) | instskip(NEXT) | instid1(VALU_DEP_1)
	v_cndmask_b32_e32 v2, v5, v7, vcc_lo
	v_xor_b32_e32 v2, v2, v6
	s_delay_alu instid0(VALU_DEP_1) | instskip(NEXT) | instid1(VALU_DEP_1)
	v_sub_nc_u32_e32 v2, v2, v6
	v_sub_nc_u32_e32 v5, 0, v2
	v_mul_lo_u32 v10, v2, s10
	s_delay_alu instid0(VALU_DEP_2) | instskip(NEXT) | instid1(VALU_DEP_2)
	v_max_i32_e32 v5, v2, v5
	v_sub_nc_u32_e32 v10, v4, v10
	s_delay_alu instid0(VALU_DEP_2) | instskip(NEXT) | instid1(VALU_DEP_1)
	v_mul_hi_u32 v6, v5, s63
	v_mul_lo_u32 v7, v6, s34
	s_delay_alu instid0(VALU_DEP_1) | instskip(SKIP_1) | instid1(VALU_DEP_2)
	v_sub_nc_u32_e32 v5, v5, v7
	v_add_nc_u32_e32 v7, 1, v6
	v_subrev_nc_u32_e32 v8, s34, v5
	v_cmp_le_u32_e32 vcc_lo, s34, v5
	s_wait_alu 0xfffd
	s_delay_alu instid0(VALU_DEP_2) | instskip(SKIP_1) | instid1(VALU_DEP_2)
	v_dual_cndmask_b32 v6, v6, v7 :: v_dual_cndmask_b32 v5, v5, v8
	v_ashrrev_i32_e32 v7, 31, v2
	v_add_nc_u32_e32 v8, 1, v6
	s_delay_alu instid0(VALU_DEP_3) | instskip(NEXT) | instid1(VALU_DEP_3)
	v_cmp_le_u32_e32 vcc_lo, s34, v5
	v_xor_b32_e32 v7, s3, v7
	s_wait_alu 0xfffd
	s_delay_alu instid0(VALU_DEP_3) | instskip(SKIP_2) | instid1(VALU_DEP_2)
	v_cndmask_b32_e32 v5, v6, v8, vcc_lo
	v_mul_lo_u32 v6, v3, s28
	s_and_not1_b32 vcc_lo, exec_lo, s4
	v_xor_b32_e32 v5, v5, v7
	s_delay_alu instid0(VALU_DEP_2) | instskip(NEXT) | instid1(VALU_DEP_2)
	v_sub_nc_u32_e32 v8, v0, v6
	v_sub_nc_u32_e32 v11, v5, v7
	v_mul_lo_u32 v7, v4, s11
	s_delay_alu instid0(VALU_DEP_2) | instskip(NEXT) | instid1(VALU_DEP_2)
	v_mul_lo_u32 v5, v11, s9
	v_sub_nc_u32_e32 v9, v3, v7
	s_delay_alu instid0(VALU_DEP_2) | instskip(NEXT) | instid1(VALU_DEP_1)
	v_sub_nc_u32_e32 v2, v2, v5
	v_ashrrev_i32_e32 v3, 31, v2
	s_wait_alu 0xfffe
	s_cbranch_vccnz .LBB7_14
; %bb.4:                                ;   in Loop: Header=BB7_3 Depth=1
	v_sub_nc_u32_e32 v4, 0, v2
	v_mul_lo_u32 v12, v10, s16
	v_mul_lo_u32 v13, v9, s17
	s_mov_b32 s66, 0
	s_delay_alu instid0(VALU_DEP_3) | instskip(NEXT) | instid1(VALU_DEP_3)
	v_max_i32_e32 v4, v2, v4
	v_subrev_nc_u32_e32 v12, s19, v12
	s_delay_alu instid0(VALU_DEP_2) | instskip(NEXT) | instid1(VALU_DEP_4)
	v_mul_hi_u32 v5, v4, s65
	v_subrev_nc_u32_e32 v13, s38, v13
	s_delay_alu instid0(VALU_DEP_3) | instskip(NEXT) | instid1(VALU_DEP_2)
	v_mul_lo_u32 v18, s22, v12
	v_mul_lo_u32 v20, s23, v13
	s_delay_alu instid0(VALU_DEP_4) | instskip(NEXT) | instid1(VALU_DEP_3)
	v_mul_lo_u32 v6, v5, s58
	v_ashrrev_i32_e32 v19, 31, v18
	s_delay_alu instid0(VALU_DEP_3) | instskip(NEXT) | instid1(VALU_DEP_3)
	v_ashrrev_i32_e32 v21, 31, v20
	v_sub_nc_u32_e32 v4, v4, v6
	v_add_nc_u32_e32 v6, 1, v5
	s_delay_alu instid0(VALU_DEP_2) | instskip(SKIP_2) | instid1(VALU_DEP_2)
	v_subrev_nc_u32_e32 v7, s58, v4
	v_cmp_le_u32_e32 vcc_lo, s58, v4
	s_wait_alu 0xfffd
	v_dual_cndmask_b32 v5, v5, v6 :: v_dual_cndmask_b32 v4, v4, v7
	v_xor_b32_e32 v7, s64, v3
	s_delay_alu instid0(VALU_DEP_2) | instskip(NEXT) | instid1(VALU_DEP_3)
	v_add_nc_u32_e32 v6, 1, v5
	v_cmp_le_u32_e32 vcc_lo, s58, v4
	s_wait_alu 0xfffd
	s_delay_alu instid0(VALU_DEP_2) | instskip(SKIP_1) | instid1(VALU_DEP_2)
	v_cndmask_b32_e32 v4, v5, v6, vcc_lo
	v_mul_lo_u32 v6, s15, v2
	v_xor_b32_e32 v5, v4, v7
	v_mul_lo_u32 v4, s20, v11
	s_delay_alu instid0(VALU_DEP_2) | instskip(SKIP_1) | instid1(VALU_DEP_2)
	v_sub_nc_u32_e32 v5, v5, v7
	v_mul_lo_u32 v7, v8, s18
	v_mul_lo_u32 v16, s21, v5
	s_delay_alu instid0(VALU_DEP_4) | instskip(NEXT) | instid1(VALU_DEP_3)
	v_ashrrev_i32_e32 v5, 31, v4
	v_subrev_nc_u32_e32 v15, s39, v7
	v_ashrrev_i32_e32 v7, 31, v6
	s_delay_alu instid0(VALU_DEP_3) | instskip(SKIP_4) | instid1(VALU_DEP_4)
	v_lshlrev_b64_e32 v[4:5], 1, v[4:5]
	v_ashrrev_i32_e32 v17, 31, v16
	s_wait_kmcnt 0x0
	v_mul_lo_u32 v22, s53, v15
	v_lshlrev_b64_e32 v[6:7], 1, v[6:7]
	v_add_co_u32 v14, vcc_lo, s40, v4
	v_lshlrev_b64_e32 v[16:17], 1, v[16:17]
	s_wait_alu 0xfffd
	v_add_co_ci_u32_e64 v24, null, s41, v5, vcc_lo
	v_lshlrev_b64_e32 v[4:5], 1, v[18:19]
	v_ashrrev_i32_e32 v23, 31, v22
	s_delay_alu instid0(VALU_DEP_4) | instskip(SKIP_3) | instid1(VALU_DEP_3)
	v_add_co_u32 v14, vcc_lo, v14, v16
	s_wait_alu 0xfffd
	v_add_co_ci_u32_e64 v18, null, v24, v17, vcc_lo
	v_lshlrev_b64_e32 v[16:17], 1, v[20:21]
	v_add_co_u32 v4, vcc_lo, v14, v4
	s_wait_alu 0xfffd
	s_delay_alu instid0(VALU_DEP_3) | instskip(SKIP_1) | instid1(VALU_DEP_3)
	v_add_co_ci_u32_e64 v5, null, v18, v5, vcc_lo
	v_lshlrev_b64_e32 v[18:19], 1, v[22:23]
	v_add_co_u32 v14, vcc_lo, v4, v16
	s_wait_alu 0xfffd
	s_delay_alu instid0(VALU_DEP_3)
	v_add_co_ci_u32_e64 v16, null, v5, v17, vcc_lo
	v_add_co_u32 v4, vcc_lo, s44, v6
	s_wait_alu 0xfffd
	v_add_co_ci_u32_e64 v5, null, s45, v7, vcc_lo
	v_add_co_u32 v6, vcc_lo, v14, v18
	s_wait_alu 0xfffd
	v_add_co_ci_u32_e64 v7, null, v16, v19, vcc_lo
	v_mov_b32_e32 v14, 0
	s_branch .LBB7_6
.LBB7_5:                                ;   in Loop: Header=BB7_6 Depth=2
	v_add_co_u32 v6, vcc_lo, v6, s48
	s_wait_alu 0xfffd
	v_add_co_ci_u32_e64 v7, null, s49, v7, vcc_lo
	s_add_co_i32 s66, s66, 1
	s_wait_alu 0xfffe
	s_cmp_eq_u32 s66, s12
	s_cbranch_scc1 .LBB7_15
.LBB7_6:                                ;   Parent Loop BB7_3 Depth=1
                                        ; =>  This Loop Header: Depth=2
                                        ;       Child Loop BB7_9 Depth 3
                                        ;         Child Loop BB7_12 Depth 4
	s_and_not1_b32 vcc_lo, exec_lo, s8
	s_wait_alu 0xfffe
	s_cbranch_vccnz .LBB7_5
; %bb.7:                                ;   in Loop: Header=BB7_6 Depth=2
	v_add_nc_u32_e32 v16, s66, v12
	s_mov_b32 s67, 0
	s_delay_alu instid0(VALU_DEP_1)
	v_cmp_lt_i32_e64 s0, -1, v16
	v_cmp_gt_i32_e64 s1, s5, v16
	s_branch .LBB7_9
.LBB7_8:                                ;   in Loop: Header=BB7_9 Depth=3
	v_add_co_u32 v6, vcc_lo, v6, s46
	s_wait_alu 0xfffd
	v_add_co_ci_u32_e64 v7, null, s47, v7, vcc_lo
	s_add_co_i32 s67, s67, 1
	s_wait_alu 0xfffe
	s_cmp_eq_u32 s67, s13
	s_cbranch_scc1 .LBB7_5
.LBB7_9:                                ;   Parent Loop BB7_3 Depth=1
                                        ;     Parent Loop BB7_6 Depth=2
                                        ; =>    This Loop Header: Depth=3
                                        ;         Child Loop BB7_12 Depth 4
	s_and_not1_b32 vcc_lo, exec_lo, s33
	s_wait_alu 0xfffe
	s_cbranch_vccnz .LBB7_8
; %bb.10:                               ;   in Loop: Header=BB7_9 Depth=3
	v_dual_mov_b32 v16, v15 :: v_dual_add_nc_u32 v17, s67, v13
	s_mov_b32 s69, s14
	s_delay_alu instid0(VALU_DEP_1)
	v_cmp_lt_i32_e64 s2, -1, v17
	v_cmp_gt_i32_e32 vcc_lo, s6, v17
	s_and_b32 s68, s0, s2
	s_branch .LBB7_12
.LBB7_11:                               ;   in Loop: Header=BB7_12 Depth=4
	s_wait_alu 0xfffe
	s_or_b32 exec_lo, exec_lo, s2
	v_add_co_u32 v4, s2, v4, 2
	s_wait_alu 0xf1ff
	v_add_co_ci_u32_e64 v5, null, 0, v5, s2
	v_add_co_u32 v6, s2, v6, 2
	s_wait_alu 0xf1ff
	v_add_co_ci_u32_e64 v7, null, 0, v7, s2
	v_add_nc_u32_e32 v16, 1, v16
	s_add_co_i32 s69, s69, -1
	s_delay_alu instid0(SALU_CYCLE_1)
	s_cmp_eq_u32 s69, 0
	s_cbranch_scc1 .LBB7_8
.LBB7_12:                               ;   Parent Loop BB7_3 Depth=1
                                        ;     Parent Loop BB7_6 Depth=2
                                        ;       Parent Loop BB7_9 Depth=3
                                        ; =>      This Inner Loop Header: Depth=4
	s_delay_alu instid0(VALU_DEP_1) | instskip(SKIP_3) | instid1(SALU_CYCLE_1)
	v_cmp_lt_i32_e64 s2, -1, v16
	s_and_b32 s70, s68, s2
	v_cmp_gt_i32_e64 s2, s7, v16
	s_and_b32 s70, s70, s1
	s_and_b32 s70, s70, vcc_lo
	s_delay_alu instid0(SALU_CYCLE_1) | instskip(NEXT) | instid1(SALU_CYCLE_1)
	s_and_b32 s70, s70, s2
	s_and_saveexec_b32 s2, s70
	s_cbranch_execz .LBB7_11
; %bb.13:                               ;   in Loop: Header=BB7_12 Depth=4
	global_load_u16 v17, v[4:5], off
	global_load_u16 v18, v[6:7], off
	s_wait_loadcnt 0x0
	v_fma_mix_f32 v14, v17, v18, v14 op_sel_hi:[1,1,0]
	s_branch .LBB7_11
.LBB7_14:                               ;   in Loop: Header=BB7_3 Depth=1
	v_mov_b32_e32 v14, 0
.LBB7_15:                               ;   in Loop: Header=BB7_3 Depth=1
	s_and_b32 vcc_lo, exec_lo, s50
	s_wait_alu 0xfffe
	s_cbranch_vccz .LBB7_2
; %bb.16:                               ;   in Loop: Header=BB7_3 Depth=1
	v_lshlrev_b64_e32 v[3:4], 1, v[2:3]
	s_delay_alu instid0(VALU_DEP_1) | instskip(SKIP_1) | instid1(VALU_DEP_2)
	v_add_co_u32 v3, vcc_lo, s36, v3
	s_wait_alu 0xfffd
	v_add_co_ci_u32_e64 v4, null, s37, v4, vcc_lo
	global_load_u16 v3, v[3:4], off
	s_wait_loadcnt 0x0
	v_cvt_f32_f16_e32 v3, v3
	s_delay_alu instid0(VALU_DEP_1)
	v_add_f32_e32 v14, v14, v3
	s_branch .LBB7_2
.LBB7_17:
	s_endpgm
	.section	.rodata,"a",@progbits
	.p2align	6, 0x0
	.amdhsa_kernel _ZN2at6native12_GLOBAL__N_128conv_depthwise3d_cuda_kernelIN3c104HalfEfLin1ELin1ELin1ELi1ELi1ELi1EEEvN5torch10headeronly6detail27GenericPackedTensorAccessorINS7_14TensorAccessorINS3_8ArrayRefIlEEKT_Lm4ENS6_16DefaultPtrTraitsEiEENS_6detail16IndexBoundsCheckILm5EiEESD_Lm5ESE_iEENS8_INS9_ISB_SC_Lm4ESE_iEESI_SC_Lm5ESE_iEESJ_PSD_iiiiiiiii
		.amdhsa_group_segment_fixed_size 0
		.amdhsa_private_segment_fixed_size 0
		.amdhsa_kernarg_size 448
		.amdhsa_user_sgpr_count 2
		.amdhsa_user_sgpr_dispatch_ptr 0
		.amdhsa_user_sgpr_queue_ptr 0
		.amdhsa_user_sgpr_kernarg_segment_ptr 1
		.amdhsa_user_sgpr_dispatch_id 0
		.amdhsa_user_sgpr_private_segment_size 0
		.amdhsa_wavefront_size32 1
		.amdhsa_uses_dynamic_stack 0
		.amdhsa_enable_private_segment 0
		.amdhsa_system_sgpr_workgroup_id_x 1
		.amdhsa_system_sgpr_workgroup_id_y 0
		.amdhsa_system_sgpr_workgroup_id_z 0
		.amdhsa_system_sgpr_workgroup_info 0
		.amdhsa_system_vgpr_workitem_id 0
		.amdhsa_next_free_vgpr 25
		.amdhsa_next_free_sgpr 71
		.amdhsa_reserve_vcc 1
		.amdhsa_float_round_mode_32 0
		.amdhsa_float_round_mode_16_64 0
		.amdhsa_float_denorm_mode_32 3
		.amdhsa_float_denorm_mode_16_64 3
		.amdhsa_fp16_overflow 0
		.amdhsa_workgroup_processor_mode 1
		.amdhsa_memory_ordered 1
		.amdhsa_forward_progress 1
		.amdhsa_inst_pref_size 18
		.amdhsa_round_robin_scheduling 0
		.amdhsa_exception_fp_ieee_invalid_op 0
		.amdhsa_exception_fp_denorm_src 0
		.amdhsa_exception_fp_ieee_div_zero 0
		.amdhsa_exception_fp_ieee_overflow 0
		.amdhsa_exception_fp_ieee_underflow 0
		.amdhsa_exception_fp_ieee_inexact 0
		.amdhsa_exception_int_div_zero 0
	.end_amdhsa_kernel
	.section	.text._ZN2at6native12_GLOBAL__N_128conv_depthwise3d_cuda_kernelIN3c104HalfEfLin1ELin1ELin1ELi1ELi1ELi1EEEvN5torch10headeronly6detail27GenericPackedTensorAccessorINS7_14TensorAccessorINS3_8ArrayRefIlEEKT_Lm4ENS6_16DefaultPtrTraitsEiEENS_6detail16IndexBoundsCheckILm5EiEESD_Lm5ESE_iEENS8_INS9_ISB_SC_Lm4ESE_iEESI_SC_Lm5ESE_iEESJ_PSD_iiiiiiiii,"axG",@progbits,_ZN2at6native12_GLOBAL__N_128conv_depthwise3d_cuda_kernelIN3c104HalfEfLin1ELin1ELin1ELi1ELi1ELi1EEEvN5torch10headeronly6detail27GenericPackedTensorAccessorINS7_14TensorAccessorINS3_8ArrayRefIlEEKT_Lm4ENS6_16DefaultPtrTraitsEiEENS_6detail16IndexBoundsCheckILm5EiEESD_Lm5ESE_iEENS8_INS9_ISB_SC_Lm4ESE_iEESI_SC_Lm5ESE_iEESJ_PSD_iiiiiiiii,comdat
.Lfunc_end7:
	.size	_ZN2at6native12_GLOBAL__N_128conv_depthwise3d_cuda_kernelIN3c104HalfEfLin1ELin1ELin1ELi1ELi1ELi1EEEvN5torch10headeronly6detail27GenericPackedTensorAccessorINS7_14TensorAccessorINS3_8ArrayRefIlEEKT_Lm4ENS6_16DefaultPtrTraitsEiEENS_6detail16IndexBoundsCheckILm5EiEESD_Lm5ESE_iEENS8_INS9_ISB_SC_Lm4ESE_iEESI_SC_Lm5ESE_iEESJ_PSD_iiiiiiiii, .Lfunc_end7-_ZN2at6native12_GLOBAL__N_128conv_depthwise3d_cuda_kernelIN3c104HalfEfLin1ELin1ELin1ELi1ELi1ELi1EEEvN5torch10headeronly6detail27GenericPackedTensorAccessorINS7_14TensorAccessorINS3_8ArrayRefIlEEKT_Lm4ENS6_16DefaultPtrTraitsEiEENS_6detail16IndexBoundsCheckILm5EiEESD_Lm5ESE_iEENS8_INS9_ISB_SC_Lm4ESE_iEESI_SC_Lm5ESE_iEESJ_PSD_iiiiiiiii
                                        ; -- End function
	.set _ZN2at6native12_GLOBAL__N_128conv_depthwise3d_cuda_kernelIN3c104HalfEfLin1ELin1ELin1ELi1ELi1ELi1EEEvN5torch10headeronly6detail27GenericPackedTensorAccessorINS7_14TensorAccessorINS3_8ArrayRefIlEEKT_Lm4ENS6_16DefaultPtrTraitsEiEENS_6detail16IndexBoundsCheckILm5EiEESD_Lm5ESE_iEENS8_INS9_ISB_SC_Lm4ESE_iEESI_SC_Lm5ESE_iEESJ_PSD_iiiiiiiii.num_vgpr, 25
	.set _ZN2at6native12_GLOBAL__N_128conv_depthwise3d_cuda_kernelIN3c104HalfEfLin1ELin1ELin1ELi1ELi1ELi1EEEvN5torch10headeronly6detail27GenericPackedTensorAccessorINS7_14TensorAccessorINS3_8ArrayRefIlEEKT_Lm4ENS6_16DefaultPtrTraitsEiEENS_6detail16IndexBoundsCheckILm5EiEESD_Lm5ESE_iEENS8_INS9_ISB_SC_Lm4ESE_iEESI_SC_Lm5ESE_iEESJ_PSD_iiiiiiiii.num_agpr, 0
	.set _ZN2at6native12_GLOBAL__N_128conv_depthwise3d_cuda_kernelIN3c104HalfEfLin1ELin1ELin1ELi1ELi1ELi1EEEvN5torch10headeronly6detail27GenericPackedTensorAccessorINS7_14TensorAccessorINS3_8ArrayRefIlEEKT_Lm4ENS6_16DefaultPtrTraitsEiEENS_6detail16IndexBoundsCheckILm5EiEESD_Lm5ESE_iEENS8_INS9_ISB_SC_Lm4ESE_iEESI_SC_Lm5ESE_iEESJ_PSD_iiiiiiiii.numbered_sgpr, 71
	.set _ZN2at6native12_GLOBAL__N_128conv_depthwise3d_cuda_kernelIN3c104HalfEfLin1ELin1ELin1ELi1ELi1ELi1EEEvN5torch10headeronly6detail27GenericPackedTensorAccessorINS7_14TensorAccessorINS3_8ArrayRefIlEEKT_Lm4ENS6_16DefaultPtrTraitsEiEENS_6detail16IndexBoundsCheckILm5EiEESD_Lm5ESE_iEENS8_INS9_ISB_SC_Lm4ESE_iEESI_SC_Lm5ESE_iEESJ_PSD_iiiiiiiii.num_named_barrier, 0
	.set _ZN2at6native12_GLOBAL__N_128conv_depthwise3d_cuda_kernelIN3c104HalfEfLin1ELin1ELin1ELi1ELi1ELi1EEEvN5torch10headeronly6detail27GenericPackedTensorAccessorINS7_14TensorAccessorINS3_8ArrayRefIlEEKT_Lm4ENS6_16DefaultPtrTraitsEiEENS_6detail16IndexBoundsCheckILm5EiEESD_Lm5ESE_iEENS8_INS9_ISB_SC_Lm4ESE_iEESI_SC_Lm5ESE_iEESJ_PSD_iiiiiiiii.private_seg_size, 0
	.set _ZN2at6native12_GLOBAL__N_128conv_depthwise3d_cuda_kernelIN3c104HalfEfLin1ELin1ELin1ELi1ELi1ELi1EEEvN5torch10headeronly6detail27GenericPackedTensorAccessorINS7_14TensorAccessorINS3_8ArrayRefIlEEKT_Lm4ENS6_16DefaultPtrTraitsEiEENS_6detail16IndexBoundsCheckILm5EiEESD_Lm5ESE_iEENS8_INS9_ISB_SC_Lm4ESE_iEESI_SC_Lm5ESE_iEESJ_PSD_iiiiiiiii.uses_vcc, 1
	.set _ZN2at6native12_GLOBAL__N_128conv_depthwise3d_cuda_kernelIN3c104HalfEfLin1ELin1ELin1ELi1ELi1ELi1EEEvN5torch10headeronly6detail27GenericPackedTensorAccessorINS7_14TensorAccessorINS3_8ArrayRefIlEEKT_Lm4ENS6_16DefaultPtrTraitsEiEENS_6detail16IndexBoundsCheckILm5EiEESD_Lm5ESE_iEENS8_INS9_ISB_SC_Lm4ESE_iEESI_SC_Lm5ESE_iEESJ_PSD_iiiiiiiii.uses_flat_scratch, 0
	.set _ZN2at6native12_GLOBAL__N_128conv_depthwise3d_cuda_kernelIN3c104HalfEfLin1ELin1ELin1ELi1ELi1ELi1EEEvN5torch10headeronly6detail27GenericPackedTensorAccessorINS7_14TensorAccessorINS3_8ArrayRefIlEEKT_Lm4ENS6_16DefaultPtrTraitsEiEENS_6detail16IndexBoundsCheckILm5EiEESD_Lm5ESE_iEENS8_INS9_ISB_SC_Lm4ESE_iEESI_SC_Lm5ESE_iEESJ_PSD_iiiiiiiii.has_dyn_sized_stack, 0
	.set _ZN2at6native12_GLOBAL__N_128conv_depthwise3d_cuda_kernelIN3c104HalfEfLin1ELin1ELin1ELi1ELi1ELi1EEEvN5torch10headeronly6detail27GenericPackedTensorAccessorINS7_14TensorAccessorINS3_8ArrayRefIlEEKT_Lm4ENS6_16DefaultPtrTraitsEiEENS_6detail16IndexBoundsCheckILm5EiEESD_Lm5ESE_iEENS8_INS9_ISB_SC_Lm4ESE_iEESI_SC_Lm5ESE_iEESJ_PSD_iiiiiiiii.has_recursion, 0
	.set _ZN2at6native12_GLOBAL__N_128conv_depthwise3d_cuda_kernelIN3c104HalfEfLin1ELin1ELin1ELi1ELi1ELi1EEEvN5torch10headeronly6detail27GenericPackedTensorAccessorINS7_14TensorAccessorINS3_8ArrayRefIlEEKT_Lm4ENS6_16DefaultPtrTraitsEiEENS_6detail16IndexBoundsCheckILm5EiEESD_Lm5ESE_iEENS8_INS9_ISB_SC_Lm4ESE_iEESI_SC_Lm5ESE_iEESJ_PSD_iiiiiiiii.has_indirect_call, 0
	.section	.AMDGPU.csdata,"",@progbits
; Kernel info:
; codeLenInByte = 2256
; TotalNumSgprs: 73
; NumVgprs: 25
; ScratchSize: 0
; MemoryBound: 0
; FloatMode: 240
; IeeeMode: 1
; LDSByteSize: 0 bytes/workgroup (compile time only)
; SGPRBlocks: 0
; VGPRBlocks: 3
; NumSGPRsForWavesPerEU: 73
; NumVGPRsForWavesPerEU: 25
; Occupancy: 16
; WaveLimiterHint : 0
; COMPUTE_PGM_RSRC2:SCRATCH_EN: 0
; COMPUTE_PGM_RSRC2:USER_SGPR: 2
; COMPUTE_PGM_RSRC2:TRAP_HANDLER: 0
; COMPUTE_PGM_RSRC2:TGID_X_EN: 1
; COMPUTE_PGM_RSRC2:TGID_Y_EN: 0
; COMPUTE_PGM_RSRC2:TGID_Z_EN: 0
; COMPUTE_PGM_RSRC2:TIDIG_COMP_CNT: 0
	.section	.text._ZN2at6native12_GLOBAL__N_128conv_depthwise3d_cuda_kernelIN3c104HalfEfLin1ELin1ELin1ELin1ELin1ELin1EEEvN5torch10headeronly6detail27GenericPackedTensorAccessorINS7_14TensorAccessorINS3_8ArrayRefIlEEKT_Lm4ENS6_16DefaultPtrTraitsEiEENS_6detail16IndexBoundsCheckILm5EiEESD_Lm5ESE_iEENS8_INS9_ISB_SC_Lm4ESE_iEESI_SC_Lm5ESE_iEESJ_PSD_iiiiiiiii,"axG",@progbits,_ZN2at6native12_GLOBAL__N_128conv_depthwise3d_cuda_kernelIN3c104HalfEfLin1ELin1ELin1ELin1ELin1ELin1EEEvN5torch10headeronly6detail27GenericPackedTensorAccessorINS7_14TensorAccessorINS3_8ArrayRefIlEEKT_Lm4ENS6_16DefaultPtrTraitsEiEENS_6detail16IndexBoundsCheckILm5EiEESD_Lm5ESE_iEENS8_INS9_ISB_SC_Lm4ESE_iEESI_SC_Lm5ESE_iEESJ_PSD_iiiiiiiii,comdat
	.globl	_ZN2at6native12_GLOBAL__N_128conv_depthwise3d_cuda_kernelIN3c104HalfEfLin1ELin1ELin1ELin1ELin1ELin1EEEvN5torch10headeronly6detail27GenericPackedTensorAccessorINS7_14TensorAccessorINS3_8ArrayRefIlEEKT_Lm4ENS6_16DefaultPtrTraitsEiEENS_6detail16IndexBoundsCheckILm5EiEESD_Lm5ESE_iEENS8_INS9_ISB_SC_Lm4ESE_iEESI_SC_Lm5ESE_iEESJ_PSD_iiiiiiiii ; -- Begin function _ZN2at6native12_GLOBAL__N_128conv_depthwise3d_cuda_kernelIN3c104HalfEfLin1ELin1ELin1ELin1ELin1ELin1EEEvN5torch10headeronly6detail27GenericPackedTensorAccessorINS7_14TensorAccessorINS3_8ArrayRefIlEEKT_Lm4ENS6_16DefaultPtrTraitsEiEENS_6detail16IndexBoundsCheckILm5EiEESD_Lm5ESE_iEENS8_INS9_ISB_SC_Lm4ESE_iEESI_SC_Lm5ESE_iEESJ_PSD_iiiiiiiii
	.p2align	8
	.type	_ZN2at6native12_GLOBAL__N_128conv_depthwise3d_cuda_kernelIN3c104HalfEfLin1ELin1ELin1ELin1ELin1ELin1EEEvN5torch10headeronly6detail27GenericPackedTensorAccessorINS7_14TensorAccessorINS3_8ArrayRefIlEEKT_Lm4ENS6_16DefaultPtrTraitsEiEENS_6detail16IndexBoundsCheckILm5EiEESD_Lm5ESE_iEENS8_INS9_ISB_SC_Lm4ESE_iEESI_SC_Lm5ESE_iEESJ_PSD_iiiiiiiii,@function
_ZN2at6native12_GLOBAL__N_128conv_depthwise3d_cuda_kernelIN3c104HalfEfLin1ELin1ELin1ELin1ELin1ELin1EEEvN5torch10headeronly6detail27GenericPackedTensorAccessorINS7_14TensorAccessorINS3_8ArrayRefIlEEKT_Lm4ENS6_16DefaultPtrTraitsEiEENS_6detail16IndexBoundsCheckILm5EiEESD_Lm5ESE_iEENS8_INS9_ISB_SC_Lm4ESE_iEESI_SC_Lm5ESE_iEESJ_PSD_iiiiiiiii: ; @_ZN2at6native12_GLOBAL__N_128conv_depthwise3d_cuda_kernelIN3c104HalfEfLin1ELin1ELin1ELin1ELin1ELin1EEEvN5torch10headeronly6detail27GenericPackedTensorAccessorINS7_14TensorAccessorINS3_8ArrayRefIlEEKT_Lm4ENS6_16DefaultPtrTraitsEiEENS_6detail16IndexBoundsCheckILm5EiEESD_Lm5ESE_iEENS8_INS9_ISB_SC_Lm4ESE_iEESI_SC_Lm5ESE_iEESJ_PSD_iiiiiiiii
; %bb.0:
	s_clause 0x3
	s_load_b128 s[12:15], s[0:1], 0xc
	s_load_b32 s3, s[0:1], 0xcc
	s_load_b64 s[34:35], s[0:1], 0x48
	s_load_b128 s[16:19], s[0:1], 0x38
	v_mov_b32_e32 v1, 0
	s_wait_kmcnt 0x0
	s_abs_i32 s2, s12
	s_and_b32 s50, s3, 0xffff
	s_cvt_f32_u32 s4, s2
	v_mad_co_u64_u32 v[0:1], null, s50, ttmp9, v[0:1]
	s_mul_i32 s36, s35, s16
	s_delay_alu instid0(SALU_CYCLE_1) | instskip(SKIP_2) | instid1(TRANS32_DEP_1)
	v_rcp_iflag_f32_e32 v2, s4
	s_ashr_i32 s37, s36, 31
	s_mov_b32 s4, exec_lo
	v_readfirstlane_b32 s3, v2
	v_cmpx_gt_i64_e64 s[36:37], v[0:1]
	s_cbranch_execz .LBB8_17
; %bb.1:
	s_mul_f32 s3, s3, 0x4f7ffffe
	s_sub_co_i32 s4, 0, s2
	s_mov_b32 s39, 0
	s_abs_i32 s38, s17
	s_cvt_u32_f32 s3, s3
	s_mov_b32 s21, s39
	s_ashr_i32 s16, s17, 31
	s_load_b64 s[42:43], s[0:1], 0x90
	s_mul_i32 s4, s4, s3
	s_cvt_f32_u32 s53, s38
	s_wait_alu 0xfffe
	s_mul_hi_u32 s4, s3, s4
	s_wait_alu 0xfffe
	s_add_co_i32 s20, s3, s4
	s_ashr_i32 s3, s12, 31
	s_mul_u64 s[24:25], s[38:39], s[20:21]
	s_clause 0x1
	s_load_b128 s[20:23], s[0:1], 0x70
	s_load_b32 s40, s[0:1], 0xb8
	s_mul_i32 s12, s25, s2
	s_load_b256 s[4:11], s[0:1], 0x98
	s_xor_b32 s24, s16, s3
	s_sub_co_i32 s3, s38, s12
	s_add_co_i32 s12, s25, 1
	s_sub_co_i32 s26, s3, s2
	s_cmp_ge_u32 s3, s2
	v_rcp_iflag_f32_e32 v4, s53
	s_cselect_b32 s12, s12, s25
	s_cselect_b32 s3, s26, s3
	s_add_co_i32 s25, s12, 1
	s_cmp_ge_u32 s3, s2
	s_add_nc_u64 s[2:3], s[0:1], 0xc0
	s_cselect_b32 s12, s25, s12
	s_load_b32 s51, s[2:3], 0x0
	s_xor_b32 s2, s12, s24
	s_delay_alu instid0(SALU_CYCLE_1)
	s_sub_co_i32 s52, s2, s24
	s_wait_kmcnt 0x0
	s_cmp_gt_i32 s20, 0
	s_mul_i32 s2, s22, s40
	s_cselect_b32 s12, -1, 0
	s_cmp_gt_i32 s21, 0
	s_mul_i32 s24, s14, s10
	s_cselect_b32 s33, -1, 0
	s_cmp_gt_i32 s22, 0
	s_mul_i32 s25, s21, s11
	s_mul_i32 s3, s15, s11
	s_cselect_b32 s56, -1, 0
	s_sub_co_i32 s24, s24, s25
	s_sub_co_i32 s2, s3, s2
	s_mul_i32 s54, s24, s15
	s_ashr_i32 s41, s40, 31
	s_ashr_i32 s3, s2, 31
	;; [unrolled: 1-line block ×3, first 2 shown]
	s_cmp_lg_u64 s[42:43], 0
	s_clause 0x1
	s_load_b64 s[44:45], s[0:1], 0x0
	s_load_b128 s[24:27], s[0:1], 0x1c
	s_cselect_b32 s57, -1, 0
	s_abs_i32 s58, s34
	s_abs_i32 s59, s19
	s_cvt_f32_u32 s28, s58
	s_cvt_f32_u32 s29, s59
	s_abs_i32 s61, s18
	s_clause 0x1
	s_load_b32 s60, s[0:1], 0x2c
	s_load_b64 s[46:47], s[0:1], 0x30
	v_rcp_iflag_f32_e32 v2, s28
	v_rcp_iflag_f32_e32 v3, s29
	s_clause 0x1
	s_load_b64 s[48:49], s[0:1], 0x60
	s_load_b128 s[28:31], s[0:1], 0x50
	s_cvt_f32_u32 s0, s61
	s_abs_i32 s64, s52
	s_mul_i32 s62, s51, s50
	s_cvt_f32_u32 s53, s64
	s_sub_co_i32 s50, 0, s58
	s_sub_co_i32 s51, 0, s59
	s_ashr_i32 s63, s34, 31
	v_readfirstlane_b32 s1, v2
	s_wait_alu 0xfffe
	v_rcp_iflag_f32_e32 v2, s0
	v_readfirstlane_b32 s0, v3
	s_ashr_i32 s68, s18, 31
	s_ashr_i32 s71, s52, 31
	s_mul_f32 s1, s1, 0x4f7ffffe
	s_lshl_b64 s[54:55], s[54:55], 1
	s_mul_f32 s0, s0, 0x4f7ffffe
	s_wait_alu 0xfffe
	s_cvt_u32_f32 s1, s1
	s_delay_alu instid0(TRANS32_DEP_1)
	v_readfirstlane_b32 s66, v2
	v_rcp_iflag_f32_e32 v2, s53
	s_cvt_u32_f32 s0, s0
	s_wait_alu 0xfffe
	s_mul_i32 s50, s50, s1
	s_lshl_b64 s[52:53], s[2:3], 1
	s_wait_alu 0xfffe
	s_mul_hi_u32 s50, s1, s50
	s_mul_i32 s51, s51, s0
	s_wait_alu 0xfffe
	s_add_co_i32 s65, s1, s50
	s_mul_f32 s1, s66, 0x4f7ffffe
	s_mul_hi_u32 s50, s0, s51
	v_readfirstlane_b32 s51, v4
	s_wait_alu 0xfffe
	s_add_co_i32 s67, s0, s50
	v_readfirstlane_b32 s50, v2
	s_cvt_u32_f32 s1, s1
	s_sub_co_i32 s0, 0, s61
	s_mul_f32 s51, s51, 0x4f7ffffe
	s_ashr_i32 s66, s19, 31
	s_wait_alu 0xfffe
	s_mul_i32 s0, s0, s1
	s_mul_f32 s50, s50, 0x4f7ffffe
	s_wait_alu 0xfffe
	s_mul_hi_u32 s0, s1, s0
	s_cvt_u32_f32 s51, s51
	s_wait_alu 0xfffe
	s_add_co_i32 s69, s1, s0
	s_sub_co_i32 s0, 0, s38
	s_cvt_u32_f32 s1, s50
	s_wait_alu 0xfffe
	s_mul_i32 s0, s0, s51
	s_sub_co_i32 s50, 0, s64
	s_wait_alu 0xfffe
	s_mul_hi_u32 s0, s51, s0
	s_mul_i32 s50, s50, s1
	s_wait_alu 0xfffe
	s_add_co_i32 s70, s51, s0
	s_mul_hi_u32 s0, s1, s50
	s_lshl_b64 s[50:51], s[40:41], 1
	s_wait_alu 0xfffe
	s_add_co_i32 s72, s1, s0
	s_branch .LBB8_3
.LBB8_2:                                ;   in Loop: Header=BB8_3 Depth=1
	v_mul_lo_u32 v3, v13, s35
	s_wait_kmcnt 0x0
	v_mul_lo_u32 v5, s28, v2
	v_mul_lo_u32 v2, s29, v12
	;; [unrolled: 1-line block ×3, first 2 shown]
	v_add_co_u32 v0, vcc_lo, v0, s62
	s_wait_alu 0xfffd
	v_add_co_ci_u32_e64 v1, null, 0, v1, vcc_lo
	v_ashrrev_i32_e32 v4, 31, v3
	v_ashrrev_i32_e32 v6, 31, v5
	v_mul_lo_u32 v9, s31, v10
	v_ashrrev_i32_e32 v8, 31, v7
	v_cvt_f16_f32_e32 v13, v14
	v_lshlrev_b64_e32 v[11:12], 1, v[3:4]
	v_ashrrev_i32_e32 v3, 31, v2
	v_lshlrev_b64_e32 v[4:5], 1, v[5:6]
	v_ashrrev_i32_e32 v10, 31, v9
	s_delay_alu instid0(VALU_DEP_4) | instskip(SKIP_3) | instid1(VALU_DEP_3)
	v_add_co_u32 v6, vcc_lo, s46, v11
	s_wait_alu 0xfffd
	v_add_co_ci_u32_e64 v11, null, s47, v12, vcc_lo
	v_lshlrev_b64_e32 v[2:3], 1, v[2:3]
	v_add_co_u32 v6, vcc_lo, v6, v4
	s_wait_alu 0xfffd
	s_delay_alu instid0(VALU_DEP_3) | instskip(SKIP_1) | instid1(VALU_DEP_3)
	v_add_co_ci_u32_e64 v11, null, v11, v5, vcc_lo
	v_lshlrev_b64_e32 v[4:5], 1, v[7:8]
	v_add_co_u32 v6, vcc_lo, v6, v2
	s_wait_alu 0xfffd
	s_delay_alu instid0(VALU_DEP_3) | instskip(SKIP_1) | instid1(VALU_DEP_3)
	;; [unrolled: 5-line block ×3, first 2 shown]
	v_add_co_ci_u32_e64 v5, null, v7, v5, vcc_lo
	v_cmp_le_i64_e32 vcc_lo, s[36:37], v[0:1]
	v_add_co_u32 v2, s0, v4, v2
	s_wait_alu 0xf1ff
	s_delay_alu instid0(VALU_DEP_3)
	v_add_co_ci_u32_e64 v3, null, v5, v3, s0
	s_or_b32 s39, vcc_lo, s39
	global_store_b16 v[2:3], v13, off
	s_wait_alu 0xfffe
	s_and_not1_b32 exec_lo, exec_lo, s39
	s_cbranch_execz .LBB8_17
.LBB8_3:                                ; =>This Loop Header: Depth=1
                                        ;     Child Loop BB8_6 Depth 2
                                        ;       Child Loop BB8_9 Depth 3
                                        ;         Child Loop BB8_12 Depth 4
	v_sub_nc_u32_e32 v2, 0, v0
	s_delay_alu instid0(VALU_DEP_1) | instskip(NEXT) | instid1(VALU_DEP_1)
	v_max_i32_e32 v2, v0, v2
	v_mul_hi_u32 v3, v2, s65
	s_delay_alu instid0(VALU_DEP_1) | instskip(NEXT) | instid1(VALU_DEP_1)
	v_mul_lo_u32 v4, v3, s58
	v_sub_nc_u32_e32 v2, v2, v4
	v_add_nc_u32_e32 v4, 1, v3
	s_delay_alu instid0(VALU_DEP_2) | instskip(SKIP_2) | instid1(VALU_DEP_2)
	v_subrev_nc_u32_e32 v5, s58, v2
	v_cmp_le_u32_e32 vcc_lo, s58, v2
	s_wait_alu 0xfffd
	v_dual_cndmask_b32 v3, v3, v4 :: v_dual_cndmask_b32 v2, v2, v5
	v_ashrrev_i32_e32 v4, 31, v0
	s_delay_alu instid0(VALU_DEP_2) | instskip(NEXT) | instid1(VALU_DEP_3)
	v_add_nc_u32_e32 v5, 1, v3
	v_cmp_le_u32_e32 vcc_lo, s58, v2
	s_delay_alu instid0(VALU_DEP_3) | instskip(SKIP_1) | instid1(VALU_DEP_3)
	v_xor_b32_e32 v4, s63, v4
	s_wait_alu 0xfffd
	v_cndmask_b32_e32 v2, v3, v5, vcc_lo
	s_delay_alu instid0(VALU_DEP_1) | instskip(NEXT) | instid1(VALU_DEP_1)
	v_xor_b32_e32 v2, v2, v4
	v_sub_nc_u32_e32 v3, v2, v4
	s_delay_alu instid0(VALU_DEP_1) | instskip(NEXT) | instid1(VALU_DEP_1)
	v_sub_nc_u32_e32 v2, 0, v3
	v_max_i32_e32 v2, v3, v2
	s_delay_alu instid0(VALU_DEP_1) | instskip(NEXT) | instid1(VALU_DEP_1)
	v_mul_hi_u32 v4, v2, s67
	v_mul_lo_u32 v5, v4, s59
	s_delay_alu instid0(VALU_DEP_1) | instskip(SKIP_1) | instid1(VALU_DEP_2)
	v_sub_nc_u32_e32 v2, v2, v5
	v_add_nc_u32_e32 v5, 1, v4
	v_subrev_nc_u32_e32 v6, s59, v2
	v_cmp_le_u32_e32 vcc_lo, s59, v2
	s_wait_alu 0xfffd
	s_delay_alu instid0(VALU_DEP_3) | instskip(NEXT) | instid1(VALU_DEP_3)
	v_cndmask_b32_e32 v4, v4, v5, vcc_lo
	v_cndmask_b32_e32 v2, v2, v6, vcc_lo
	v_ashrrev_i32_e32 v5, 31, v3
	s_delay_alu instid0(VALU_DEP_3) | instskip(NEXT) | instid1(VALU_DEP_3)
	v_add_nc_u32_e32 v6, 1, v4
	v_cmp_le_u32_e32 vcc_lo, s59, v2
	s_delay_alu instid0(VALU_DEP_3) | instskip(SKIP_1) | instid1(VALU_DEP_3)
	v_xor_b32_e32 v5, s66, v5
	s_wait_alu 0xfffd
	v_cndmask_b32_e32 v2, v4, v6, vcc_lo
	s_delay_alu instid0(VALU_DEP_1) | instskip(NEXT) | instid1(VALU_DEP_1)
	v_xor_b32_e32 v2, v2, v5
	v_sub_nc_u32_e32 v4, v2, v5
	s_delay_alu instid0(VALU_DEP_1) | instskip(NEXT) | instid1(VALU_DEP_1)
	v_sub_nc_u32_e32 v2, 0, v4
	v_max_i32_e32 v2, v4, v2
	s_delay_alu instid0(VALU_DEP_1) | instskip(NEXT) | instid1(VALU_DEP_1)
	v_mul_hi_u32 v5, v2, s69
	v_mul_lo_u32 v6, v5, s61
	s_delay_alu instid0(VALU_DEP_1) | instskip(SKIP_1) | instid1(VALU_DEP_2)
	v_sub_nc_u32_e32 v2, v2, v6
	v_add_nc_u32_e32 v6, 1, v5
	v_subrev_nc_u32_e32 v7, s61, v2
	v_cmp_le_u32_e32 vcc_lo, s61, v2
	s_wait_alu 0xfffd
	s_delay_alu instid0(VALU_DEP_2) | instskip(SKIP_1) | instid1(VALU_DEP_2)
	v_dual_cndmask_b32 v5, v5, v6 :: v_dual_cndmask_b32 v2, v2, v7
	v_ashrrev_i32_e32 v6, 31, v4
	v_add_nc_u32_e32 v7, 1, v5
	s_delay_alu instid0(VALU_DEP_3) | instskip(NEXT) | instid1(VALU_DEP_3)
	v_cmp_le_u32_e32 vcc_lo, s61, v2
	v_xor_b32_e32 v6, s68, v6
	s_wait_alu 0xfffd
	s_delay_alu instid0(VALU_DEP_3) | instskip(NEXT) | instid1(VALU_DEP_1)
	v_cndmask_b32_e32 v2, v5, v7, vcc_lo
	v_xor_b32_e32 v2, v2, v6
	s_delay_alu instid0(VALU_DEP_1) | instskip(NEXT) | instid1(VALU_DEP_1)
	v_sub_nc_u32_e32 v2, v2, v6
	v_sub_nc_u32_e32 v5, 0, v2
	s_delay_alu instid0(VALU_DEP_1) | instskip(NEXT) | instid1(VALU_DEP_1)
	v_max_i32_e32 v5, v2, v5
	v_mul_hi_u32 v6, v5, s70
	s_delay_alu instid0(VALU_DEP_1) | instskip(NEXT) | instid1(VALU_DEP_1)
	v_mul_lo_u32 v7, v6, s38
	v_sub_nc_u32_e32 v5, v5, v7
	v_add_nc_u32_e32 v7, 1, v6
	s_delay_alu instid0(VALU_DEP_2) | instskip(SKIP_2) | instid1(VALU_DEP_2)
	v_subrev_nc_u32_e32 v8, s38, v5
	v_cmp_le_u32_e32 vcc_lo, s38, v5
	s_wait_alu 0xfffd
	v_dual_cndmask_b32 v6, v6, v7 :: v_dual_cndmask_b32 v5, v5, v8
	v_ashrrev_i32_e32 v7, 31, v2
	s_delay_alu instid0(VALU_DEP_2) | instskip(NEXT) | instid1(VALU_DEP_3)
	v_add_nc_u32_e32 v8, 1, v6
	v_cmp_le_u32_e32 vcc_lo, s38, v5
	s_delay_alu instid0(VALU_DEP_3) | instskip(SKIP_1) | instid1(VALU_DEP_3)
	v_xor_b32_e32 v7, s16, v7
	s_wait_alu 0xfffd
	v_cndmask_b32_e32 v5, v6, v8, vcc_lo
	v_mul_lo_u32 v6, v3, s34
	v_mul_lo_u32 v8, v2, s18
	s_and_not1_b32 vcc_lo, exec_lo, s12
	s_delay_alu instid0(VALU_DEP_3) | instskip(NEXT) | instid1(VALU_DEP_3)
	v_xor_b32_e32 v5, v5, v7
	v_sub_nc_u32_e32 v10, v0, v6
	s_delay_alu instid0(VALU_DEP_2) | instskip(SKIP_2) | instid1(VALU_DEP_3)
	v_sub_nc_u32_e32 v13, v5, v7
	v_mul_lo_u32 v7, v4, s19
	v_sub_nc_u32_e32 v12, v4, v8
	v_mul_lo_u32 v5, v13, s17
	s_delay_alu instid0(VALU_DEP_3) | instskip(NEXT) | instid1(VALU_DEP_2)
	v_sub_nc_u32_e32 v11, v3, v7
	v_sub_nc_u32_e32 v2, v2, v5
	s_delay_alu instid0(VALU_DEP_1)
	v_ashrrev_i32_e32 v3, 31, v2
	s_wait_alu 0xfffe
	s_cbranch_vccnz .LBB8_14
; %bb.4:                                ;   in Loop: Header=BB8_3 Depth=1
	v_sub_nc_u32_e32 v4, 0, v2
	v_mul_lo_u32 v9, v11, s5
	v_mul_lo_u32 v14, v10, s6
	;; [unrolled: 1-line block ×3, first 2 shown]
	s_mov_b32 s3, 0
	v_max_i32_e32 v4, v2, v4
	s_delay_alu instid0(VALU_DEP_3) | instskip(NEXT) | instid1(VALU_DEP_2)
	v_subrev_nc_u32_e32 v15, s9, v14
	v_mul_hi_u32 v5, v4, s72
	s_wait_kmcnt 0x0
	s_delay_alu instid0(VALU_DEP_2) | instskip(NEXT) | instid1(VALU_DEP_2)
	v_mul_lo_u32 v22, s60, v15
	v_mul_lo_u32 v6, v5, s64
	s_delay_alu instid0(VALU_DEP_2) | instskip(NEXT) | instid1(VALU_DEP_2)
	v_ashrrev_i32_e32 v23, 31, v22
	v_sub_nc_u32_e32 v4, v4, v6
	v_add_nc_u32_e32 v6, 1, v5
	s_delay_alu instid0(VALU_DEP_2) | instskip(SKIP_2) | instid1(VALU_DEP_2)
	v_subrev_nc_u32_e32 v7, s64, v4
	v_cmp_le_u32_e32 vcc_lo, s64, v4
	s_wait_alu 0xfffd
	v_dual_cndmask_b32 v5, v5, v6 :: v_dual_cndmask_b32 v4, v4, v7
	v_xor_b32_e32 v7, s71, v3
	s_delay_alu instid0(VALU_DEP_2) | instskip(NEXT) | instid1(VALU_DEP_3)
	v_add_nc_u32_e32 v6, 1, v5
	v_cmp_le_u32_e32 vcc_lo, s64, v4
	s_wait_alu 0xfffd
	s_delay_alu instid0(VALU_DEP_2) | instskip(SKIP_2) | instid1(VALU_DEP_3)
	v_cndmask_b32_e32 v4, v5, v6, vcc_lo
	v_mul_lo_u32 v5, v12, s4
	v_mul_lo_u32 v6, s24, v13
	v_xor_b32_e32 v4, v4, v7
	s_delay_alu instid0(VALU_DEP_1) | instskip(NEXT) | instid1(VALU_DEP_4)
	v_sub_nc_u32_e32 v7, v4, v7
	v_subrev_nc_u32_e32 v4, s7, v5
	v_subrev_nc_u32_e32 v5, s8, v9
	v_ashrrev_i32_e32 v9, 31, v8
	s_delay_alu instid0(VALU_DEP_4) | instskip(SKIP_4) | instid1(VALU_DEP_4)
	v_mul_lo_u32 v16, s25, v7
	v_ashrrev_i32_e32 v7, 31, v6
	v_mul_lo_u32 v18, s26, v4
	v_mul_lo_u32 v20, s27, v5
	v_lshlrev_b64_e32 v[8:9], 1, v[8:9]
	v_lshlrev_b64_e32 v[6:7], 1, v[6:7]
	v_ashrrev_i32_e32 v17, 31, v16
	v_ashrrev_i32_e32 v19, 31, v18
	;; [unrolled: 1-line block ×3, first 2 shown]
	s_delay_alu instid0(VALU_DEP_4) | instskip(NEXT) | instid1(VALU_DEP_4)
	v_add_co_u32 v14, vcc_lo, s44, v6
	v_lshlrev_b64_e32 v[16:17], 1, v[16:17]
	s_wait_alu 0xfffd
	v_add_co_ci_u32_e64 v24, null, s45, v7, vcc_lo
	v_lshlrev_b64_e32 v[6:7], 1, v[18:19]
	s_delay_alu instid0(VALU_DEP_3) | instskip(SKIP_1) | instid1(VALU_DEP_3)
	v_add_co_u32 v14, vcc_lo, v14, v16
	s_wait_alu 0xfffd
	v_add_co_ci_u32_e64 v18, null, v24, v17, vcc_lo
	v_lshlrev_b64_e32 v[16:17], 1, v[20:21]
	s_delay_alu instid0(VALU_DEP_3) | instskip(SKIP_1) | instid1(VALU_DEP_3)
	v_add_co_u32 v6, vcc_lo, v14, v6
	;; [unrolled: 5-line block ×3, first 2 shown]
	s_wait_alu 0xfffd
	v_add_co_ci_u32_e64 v16, null, v7, v17, vcc_lo
	v_add_co_u32 v6, vcc_lo, s48, v8
	s_wait_alu 0xfffd
	v_add_co_ci_u32_e64 v7, null, s49, v9, vcc_lo
	v_add_co_u32 v8, vcc_lo, v14, v18
	s_wait_alu 0xfffd
	v_add_co_ci_u32_e64 v9, null, v16, v19, vcc_lo
	v_mov_b32_e32 v14, 0
	s_branch .LBB8_6
.LBB8_5:                                ;   in Loop: Header=BB8_6 Depth=2
	v_add_co_u32 v8, vcc_lo, v8, s54
	s_wait_alu 0xfffd
	v_add_co_ci_u32_e64 v9, null, s55, v9, vcc_lo
	s_add_co_i32 s3, s3, 1
	s_wait_alu 0xfffe
	s_cmp_eq_u32 s3, s20
	s_cbranch_scc1 .LBB8_15
.LBB8_6:                                ;   Parent Loop BB8_3 Depth=1
                                        ; =>  This Loop Header: Depth=2
                                        ;       Child Loop BB8_9 Depth 3
                                        ;         Child Loop BB8_12 Depth 4
	s_and_not1_b32 vcc_lo, exec_lo, s33
	s_wait_alu 0xfffe
	s_cbranch_vccnz .LBB8_5
; %bb.7:                                ;   in Loop: Header=BB8_6 Depth=2
	v_mad_co_u64_u32 v[16:17], null, s3, s10, v[4:5]
	s_mov_b32 s41, 0
	v_cmp_lt_i32_e64 s0, -1, v16
	v_cmp_gt_i32_e64 s1, s13, v16
	s_branch .LBB8_9
.LBB8_8:                                ;   in Loop: Header=BB8_9 Depth=3
	v_add_co_u32 v8, vcc_lo, v8, s52
	s_wait_alu 0xfffd
	v_add_co_ci_u32_e64 v9, null, s53, v9, vcc_lo
	s_add_co_i32 s41, s41, 1
	s_wait_alu 0xfffe
	s_cmp_eq_u32 s41, s21
	s_cbranch_scc1 .LBB8_5
.LBB8_9:                                ;   Parent Loop BB8_3 Depth=1
                                        ;     Parent Loop BB8_6 Depth=2
                                        ; =>    This Loop Header: Depth=3
                                        ;         Child Loop BB8_12 Depth 4
	s_and_not1_b32 vcc_lo, exec_lo, s56
	s_wait_alu 0xfffe
	s_cbranch_vccnz .LBB8_8
; %bb.10:                               ;   in Loop: Header=BB8_9 Depth=3
	v_mad_co_u64_u32 v[17:18], null, s41, s11, v[5:6]
	v_mov_b32_e32 v16, v15
	s_mov_b32 s74, s22
	s_delay_alu instid0(VALU_DEP_2)
	v_cmp_lt_i32_e64 s2, -1, v17
	v_cmp_gt_i32_e32 vcc_lo, s14, v17
	s_and_b32 s73, s0, s2
	s_branch .LBB8_12
.LBB8_11:                               ;   in Loop: Header=BB8_12 Depth=4
	s_wait_alu 0xfffe
	s_or_b32 exec_lo, exec_lo, s2
	v_add_co_u32 v6, s2, v6, 2
	s_wait_alu 0xf1ff
	v_add_co_ci_u32_e64 v7, null, 0, v7, s2
	v_add_co_u32 v8, s2, v8, s50
	v_add_nc_u32_e32 v16, s40, v16
	s_wait_alu 0xf1ff
	v_add_co_ci_u32_e64 v9, null, s51, v9, s2
	s_add_co_i32 s74, s74, -1
	s_delay_alu instid0(SALU_CYCLE_1)
	s_cmp_eq_u32 s74, 0
	s_cbranch_scc1 .LBB8_8
.LBB8_12:                               ;   Parent Loop BB8_3 Depth=1
                                        ;     Parent Loop BB8_6 Depth=2
                                        ;       Parent Loop BB8_9 Depth=3
                                        ; =>      This Inner Loop Header: Depth=4
	v_cmp_lt_i32_e64 s2, -1, v16
	s_wait_alu 0xfffe
	s_and_b32 s75, s73, s2
	v_cmp_gt_i32_e64 s2, s15, v16
	s_and_b32 s75, s75, s1
	s_delay_alu instid0(SALU_CYCLE_1) | instskip(NEXT) | instid1(SALU_CYCLE_1)
	s_and_b32 s75, s75, vcc_lo
	s_and_b32 s75, s75, s2
	s_delay_alu instid0(SALU_CYCLE_1)
	s_and_saveexec_b32 s2, s75
	s_cbranch_execz .LBB8_11
; %bb.13:                               ;   in Loop: Header=BB8_12 Depth=4
	global_load_u16 v17, v[6:7], off
	global_load_u16 v18, v[8:9], off
	s_wait_loadcnt 0x0
	v_fma_mix_f32 v14, v17, v18, v14 op_sel_hi:[1,1,0]
	s_branch .LBB8_11
.LBB8_14:                               ;   in Loop: Header=BB8_3 Depth=1
	v_mov_b32_e32 v14, 0
.LBB8_15:                               ;   in Loop: Header=BB8_3 Depth=1
	s_and_b32 vcc_lo, exec_lo, s57
	s_wait_alu 0xfffe
	s_cbranch_vccz .LBB8_2
; %bb.16:                               ;   in Loop: Header=BB8_3 Depth=1
	v_lshlrev_b64_e32 v[3:4], 1, v[2:3]
	s_delay_alu instid0(VALU_DEP_1) | instskip(SKIP_1) | instid1(VALU_DEP_2)
	v_add_co_u32 v3, vcc_lo, s42, v3
	s_wait_alu 0xfffd
	v_add_co_ci_u32_e64 v4, null, s43, v4, vcc_lo
	global_load_u16 v3, v[3:4], off
	s_wait_loadcnt 0x0
	v_cvt_f32_f16_e32 v3, v3
	s_delay_alu instid0(VALU_DEP_1)
	v_add_f32_e32 v14, v14, v3
	s_branch .LBB8_2
.LBB8_17:
	s_endpgm
	.section	.rodata,"a",@progbits
	.p2align	6, 0x0
	.amdhsa_kernel _ZN2at6native12_GLOBAL__N_128conv_depthwise3d_cuda_kernelIN3c104HalfEfLin1ELin1ELin1ELin1ELin1ELin1EEEvN5torch10headeronly6detail27GenericPackedTensorAccessorINS7_14TensorAccessorINS3_8ArrayRefIlEEKT_Lm4ENS6_16DefaultPtrTraitsEiEENS_6detail16IndexBoundsCheckILm5EiEESD_Lm5ESE_iEENS8_INS9_ISB_SC_Lm4ESE_iEESI_SC_Lm5ESE_iEESJ_PSD_iiiiiiiii
		.amdhsa_group_segment_fixed_size 0
		.amdhsa_private_segment_fixed_size 0
		.amdhsa_kernarg_size 448
		.amdhsa_user_sgpr_count 2
		.amdhsa_user_sgpr_dispatch_ptr 0
		.amdhsa_user_sgpr_queue_ptr 0
		.amdhsa_user_sgpr_kernarg_segment_ptr 1
		.amdhsa_user_sgpr_dispatch_id 0
		.amdhsa_user_sgpr_private_segment_size 0
		.amdhsa_wavefront_size32 1
		.amdhsa_uses_dynamic_stack 0
		.amdhsa_enable_private_segment 0
		.amdhsa_system_sgpr_workgroup_id_x 1
		.amdhsa_system_sgpr_workgroup_id_y 0
		.amdhsa_system_sgpr_workgroup_id_z 0
		.amdhsa_system_sgpr_workgroup_info 0
		.amdhsa_system_vgpr_workitem_id 0
		.amdhsa_next_free_vgpr 25
		.amdhsa_next_free_sgpr 76
		.amdhsa_reserve_vcc 1
		.amdhsa_float_round_mode_32 0
		.amdhsa_float_round_mode_16_64 0
		.amdhsa_float_denorm_mode_32 3
		.amdhsa_float_denorm_mode_16_64 3
		.amdhsa_fp16_overflow 0
		.amdhsa_workgroup_processor_mode 1
		.amdhsa_memory_ordered 1
		.amdhsa_forward_progress 1
		.amdhsa_inst_pref_size 18
		.amdhsa_round_robin_scheduling 0
		.amdhsa_exception_fp_ieee_invalid_op 0
		.amdhsa_exception_fp_denorm_src 0
		.amdhsa_exception_fp_ieee_div_zero 0
		.amdhsa_exception_fp_ieee_overflow 0
		.amdhsa_exception_fp_ieee_underflow 0
		.amdhsa_exception_fp_ieee_inexact 0
		.amdhsa_exception_int_div_zero 0
	.end_amdhsa_kernel
	.section	.text._ZN2at6native12_GLOBAL__N_128conv_depthwise3d_cuda_kernelIN3c104HalfEfLin1ELin1ELin1ELin1ELin1ELin1EEEvN5torch10headeronly6detail27GenericPackedTensorAccessorINS7_14TensorAccessorINS3_8ArrayRefIlEEKT_Lm4ENS6_16DefaultPtrTraitsEiEENS_6detail16IndexBoundsCheckILm5EiEESD_Lm5ESE_iEENS8_INS9_ISB_SC_Lm4ESE_iEESI_SC_Lm5ESE_iEESJ_PSD_iiiiiiiii,"axG",@progbits,_ZN2at6native12_GLOBAL__N_128conv_depthwise3d_cuda_kernelIN3c104HalfEfLin1ELin1ELin1ELin1ELin1ELin1EEEvN5torch10headeronly6detail27GenericPackedTensorAccessorINS7_14TensorAccessorINS3_8ArrayRefIlEEKT_Lm4ENS6_16DefaultPtrTraitsEiEENS_6detail16IndexBoundsCheckILm5EiEESD_Lm5ESE_iEENS8_INS9_ISB_SC_Lm4ESE_iEESI_SC_Lm5ESE_iEESJ_PSD_iiiiiiiii,comdat
.Lfunc_end8:
	.size	_ZN2at6native12_GLOBAL__N_128conv_depthwise3d_cuda_kernelIN3c104HalfEfLin1ELin1ELin1ELin1ELin1ELin1EEEvN5torch10headeronly6detail27GenericPackedTensorAccessorINS7_14TensorAccessorINS3_8ArrayRefIlEEKT_Lm4ENS6_16DefaultPtrTraitsEiEENS_6detail16IndexBoundsCheckILm5EiEESD_Lm5ESE_iEENS8_INS9_ISB_SC_Lm4ESE_iEESI_SC_Lm5ESE_iEESJ_PSD_iiiiiiiii, .Lfunc_end8-_ZN2at6native12_GLOBAL__N_128conv_depthwise3d_cuda_kernelIN3c104HalfEfLin1ELin1ELin1ELin1ELin1ELin1EEEvN5torch10headeronly6detail27GenericPackedTensorAccessorINS7_14TensorAccessorINS3_8ArrayRefIlEEKT_Lm4ENS6_16DefaultPtrTraitsEiEENS_6detail16IndexBoundsCheckILm5EiEESD_Lm5ESE_iEENS8_INS9_ISB_SC_Lm4ESE_iEESI_SC_Lm5ESE_iEESJ_PSD_iiiiiiiii
                                        ; -- End function
	.set _ZN2at6native12_GLOBAL__N_128conv_depthwise3d_cuda_kernelIN3c104HalfEfLin1ELin1ELin1ELin1ELin1ELin1EEEvN5torch10headeronly6detail27GenericPackedTensorAccessorINS7_14TensorAccessorINS3_8ArrayRefIlEEKT_Lm4ENS6_16DefaultPtrTraitsEiEENS_6detail16IndexBoundsCheckILm5EiEESD_Lm5ESE_iEENS8_INS9_ISB_SC_Lm4ESE_iEESI_SC_Lm5ESE_iEESJ_PSD_iiiiiiiii.num_vgpr, 25
	.set _ZN2at6native12_GLOBAL__N_128conv_depthwise3d_cuda_kernelIN3c104HalfEfLin1ELin1ELin1ELin1ELin1ELin1EEEvN5torch10headeronly6detail27GenericPackedTensorAccessorINS7_14TensorAccessorINS3_8ArrayRefIlEEKT_Lm4ENS6_16DefaultPtrTraitsEiEENS_6detail16IndexBoundsCheckILm5EiEESD_Lm5ESE_iEENS8_INS9_ISB_SC_Lm4ESE_iEESI_SC_Lm5ESE_iEESJ_PSD_iiiiiiiii.num_agpr, 0
	.set _ZN2at6native12_GLOBAL__N_128conv_depthwise3d_cuda_kernelIN3c104HalfEfLin1ELin1ELin1ELin1ELin1ELin1EEEvN5torch10headeronly6detail27GenericPackedTensorAccessorINS7_14TensorAccessorINS3_8ArrayRefIlEEKT_Lm4ENS6_16DefaultPtrTraitsEiEENS_6detail16IndexBoundsCheckILm5EiEESD_Lm5ESE_iEENS8_INS9_ISB_SC_Lm4ESE_iEESI_SC_Lm5ESE_iEESJ_PSD_iiiiiiiii.numbered_sgpr, 76
	.set _ZN2at6native12_GLOBAL__N_128conv_depthwise3d_cuda_kernelIN3c104HalfEfLin1ELin1ELin1ELin1ELin1ELin1EEEvN5torch10headeronly6detail27GenericPackedTensorAccessorINS7_14TensorAccessorINS3_8ArrayRefIlEEKT_Lm4ENS6_16DefaultPtrTraitsEiEENS_6detail16IndexBoundsCheckILm5EiEESD_Lm5ESE_iEENS8_INS9_ISB_SC_Lm4ESE_iEESI_SC_Lm5ESE_iEESJ_PSD_iiiiiiiii.num_named_barrier, 0
	.set _ZN2at6native12_GLOBAL__N_128conv_depthwise3d_cuda_kernelIN3c104HalfEfLin1ELin1ELin1ELin1ELin1ELin1EEEvN5torch10headeronly6detail27GenericPackedTensorAccessorINS7_14TensorAccessorINS3_8ArrayRefIlEEKT_Lm4ENS6_16DefaultPtrTraitsEiEENS_6detail16IndexBoundsCheckILm5EiEESD_Lm5ESE_iEENS8_INS9_ISB_SC_Lm4ESE_iEESI_SC_Lm5ESE_iEESJ_PSD_iiiiiiiii.private_seg_size, 0
	.set _ZN2at6native12_GLOBAL__N_128conv_depthwise3d_cuda_kernelIN3c104HalfEfLin1ELin1ELin1ELin1ELin1ELin1EEEvN5torch10headeronly6detail27GenericPackedTensorAccessorINS7_14TensorAccessorINS3_8ArrayRefIlEEKT_Lm4ENS6_16DefaultPtrTraitsEiEENS_6detail16IndexBoundsCheckILm5EiEESD_Lm5ESE_iEENS8_INS9_ISB_SC_Lm4ESE_iEESI_SC_Lm5ESE_iEESJ_PSD_iiiiiiiii.uses_vcc, 1
	.set _ZN2at6native12_GLOBAL__N_128conv_depthwise3d_cuda_kernelIN3c104HalfEfLin1ELin1ELin1ELin1ELin1ELin1EEEvN5torch10headeronly6detail27GenericPackedTensorAccessorINS7_14TensorAccessorINS3_8ArrayRefIlEEKT_Lm4ENS6_16DefaultPtrTraitsEiEENS_6detail16IndexBoundsCheckILm5EiEESD_Lm5ESE_iEENS8_INS9_ISB_SC_Lm4ESE_iEESI_SC_Lm5ESE_iEESJ_PSD_iiiiiiiii.uses_flat_scratch, 0
	.set _ZN2at6native12_GLOBAL__N_128conv_depthwise3d_cuda_kernelIN3c104HalfEfLin1ELin1ELin1ELin1ELin1ELin1EEEvN5torch10headeronly6detail27GenericPackedTensorAccessorINS7_14TensorAccessorINS3_8ArrayRefIlEEKT_Lm4ENS6_16DefaultPtrTraitsEiEENS_6detail16IndexBoundsCheckILm5EiEESD_Lm5ESE_iEENS8_INS9_ISB_SC_Lm4ESE_iEESI_SC_Lm5ESE_iEESJ_PSD_iiiiiiiii.has_dyn_sized_stack, 0
	.set _ZN2at6native12_GLOBAL__N_128conv_depthwise3d_cuda_kernelIN3c104HalfEfLin1ELin1ELin1ELin1ELin1ELin1EEEvN5torch10headeronly6detail27GenericPackedTensorAccessorINS7_14TensorAccessorINS3_8ArrayRefIlEEKT_Lm4ENS6_16DefaultPtrTraitsEiEENS_6detail16IndexBoundsCheckILm5EiEESD_Lm5ESE_iEENS8_INS9_ISB_SC_Lm4ESE_iEESI_SC_Lm5ESE_iEESJ_PSD_iiiiiiiii.has_recursion, 0
	.set _ZN2at6native12_GLOBAL__N_128conv_depthwise3d_cuda_kernelIN3c104HalfEfLin1ELin1ELin1ELin1ELin1ELin1EEEvN5torch10headeronly6detail27GenericPackedTensorAccessorINS7_14TensorAccessorINS3_8ArrayRefIlEEKT_Lm4ENS6_16DefaultPtrTraitsEiEENS_6detail16IndexBoundsCheckILm5EiEESD_Lm5ESE_iEENS8_INS9_ISB_SC_Lm4ESE_iEESI_SC_Lm5ESE_iEESJ_PSD_iiiiiiiii.has_indirect_call, 0
	.section	.AMDGPU.csdata,"",@progbits
; Kernel info:
; codeLenInByte = 2296
; TotalNumSgprs: 78
; NumVgprs: 25
; ScratchSize: 0
; MemoryBound: 0
; FloatMode: 240
; IeeeMode: 1
; LDSByteSize: 0 bytes/workgroup (compile time only)
; SGPRBlocks: 0
; VGPRBlocks: 3
; NumSGPRsForWavesPerEU: 78
; NumVGPRsForWavesPerEU: 25
; Occupancy: 16
; WaveLimiterHint : 0
; COMPUTE_PGM_RSRC2:SCRATCH_EN: 0
; COMPUTE_PGM_RSRC2:USER_SGPR: 2
; COMPUTE_PGM_RSRC2:TRAP_HANDLER: 0
; COMPUTE_PGM_RSRC2:TGID_X_EN: 1
; COMPUTE_PGM_RSRC2:TGID_Y_EN: 0
; COMPUTE_PGM_RSRC2:TGID_Z_EN: 0
; COMPUTE_PGM_RSRC2:TIDIG_COMP_CNT: 0
	.section	.text._ZN2at6native12_GLOBAL__N_128conv_depthwise3d_cuda_kernelIN3c108BFloat16EfLi3ELi3ELi3ELi1ELi1ELi1EEEvN5torch10headeronly6detail27GenericPackedTensorAccessorINS7_14TensorAccessorINS3_8ArrayRefIlEEKT_Lm4ENS6_16DefaultPtrTraitsEiEENS_6detail16IndexBoundsCheckILm5EiEESD_Lm5ESE_iEENS8_INS9_ISB_SC_Lm4ESE_iEESI_SC_Lm5ESE_iEESJ_PSD_iiiiiiiii,"axG",@progbits,_ZN2at6native12_GLOBAL__N_128conv_depthwise3d_cuda_kernelIN3c108BFloat16EfLi3ELi3ELi3ELi1ELi1ELi1EEEvN5torch10headeronly6detail27GenericPackedTensorAccessorINS7_14TensorAccessorINS3_8ArrayRefIlEEKT_Lm4ENS6_16DefaultPtrTraitsEiEENS_6detail16IndexBoundsCheckILm5EiEESD_Lm5ESE_iEENS8_INS9_ISB_SC_Lm4ESE_iEESI_SC_Lm5ESE_iEESJ_PSD_iiiiiiiii,comdat
	.globl	_ZN2at6native12_GLOBAL__N_128conv_depthwise3d_cuda_kernelIN3c108BFloat16EfLi3ELi3ELi3ELi1ELi1ELi1EEEvN5torch10headeronly6detail27GenericPackedTensorAccessorINS7_14TensorAccessorINS3_8ArrayRefIlEEKT_Lm4ENS6_16DefaultPtrTraitsEiEENS_6detail16IndexBoundsCheckILm5EiEESD_Lm5ESE_iEENS8_INS9_ISB_SC_Lm4ESE_iEESI_SC_Lm5ESE_iEESJ_PSD_iiiiiiiii ; -- Begin function _ZN2at6native12_GLOBAL__N_128conv_depthwise3d_cuda_kernelIN3c108BFloat16EfLi3ELi3ELi3ELi1ELi1ELi1EEEvN5torch10headeronly6detail27GenericPackedTensorAccessorINS7_14TensorAccessorINS3_8ArrayRefIlEEKT_Lm4ENS6_16DefaultPtrTraitsEiEENS_6detail16IndexBoundsCheckILm5EiEESD_Lm5ESE_iEENS8_INS9_ISB_SC_Lm4ESE_iEESI_SC_Lm5ESE_iEESJ_PSD_iiiiiiiii
	.p2align	8
	.type	_ZN2at6native12_GLOBAL__N_128conv_depthwise3d_cuda_kernelIN3c108BFloat16EfLi3ELi3ELi3ELi1ELi1ELi1EEEvN5torch10headeronly6detail27GenericPackedTensorAccessorINS7_14TensorAccessorINS3_8ArrayRefIlEEKT_Lm4ENS6_16DefaultPtrTraitsEiEENS_6detail16IndexBoundsCheckILm5EiEESD_Lm5ESE_iEENS8_INS9_ISB_SC_Lm4ESE_iEESI_SC_Lm5ESE_iEESJ_PSD_iiiiiiiii,@function
_ZN2at6native12_GLOBAL__N_128conv_depthwise3d_cuda_kernelIN3c108BFloat16EfLi3ELi3ELi3ELi1ELi1ELi1EEEvN5torch10headeronly6detail27GenericPackedTensorAccessorINS7_14TensorAccessorINS3_8ArrayRefIlEEKT_Lm4ENS6_16DefaultPtrTraitsEiEENS_6detail16IndexBoundsCheckILm5EiEESD_Lm5ESE_iEENS8_INS9_ISB_SC_Lm4ESE_iEESI_SC_Lm5ESE_iEESJ_PSD_iiiiiiiii: ; @_ZN2at6native12_GLOBAL__N_128conv_depthwise3d_cuda_kernelIN3c108BFloat16EfLi3ELi3ELi3ELi1ELi1ELi1EEEvN5torch10headeronly6detail27GenericPackedTensorAccessorINS7_14TensorAccessorINS3_8ArrayRefIlEEKT_Lm4ENS6_16DefaultPtrTraitsEiEENS_6detail16IndexBoundsCheckILm5EiEESD_Lm5ESE_iEENS8_INS9_ISB_SC_Lm4ESE_iEESI_SC_Lm5ESE_iEESJ_PSD_iiiiiiiii
; %bb.0:
	s_clause 0x3
	s_load_b128 s[16:19], s[0:1], 0xc
	s_load_b32 s2, s[0:1], 0xcc
	s_load_b64 s[34:35], s[0:1], 0x48
	s_load_b128 s[20:23], s[0:1], 0x38
	s_mov_b32 s15, 0
	s_mov_b32 s14, ttmp9
	s_mov_b32 s3, s15
	v_mov_b32_e32 v7, 0
	s_wait_kmcnt 0x0
	s_abs_i32 s4, s16
	s_and_b32 s2, s2, 0xffff
	s_cvt_f32_u32 s5, s4
	s_mul_u64 s[40:41], s[2:3], s[14:15]
	s_mul_i32 s42, s35, s20
	v_add_co_u32 v1, s3, s40, v0
	v_rcp_iflag_f32_e32 v3, s5
	v_add_co_ci_u32_e64 v2, null, s41, 0, s3
	s_ashr_i32 s43, s42, 31
	s_mov_b32 s5, exec_lo
	s_delay_alu instid0(TRANS32_DEP_1)
	v_readfirstlane_b32 s3, v3
	v_cmpx_gt_i64_e64 s[42:43], v[1:2]
	s_cbranch_execz .LBB9_59
; %bb.1:
	s_mul_f32 s3, s3, 0x4f7ffffe
	s_sub_co_i32 s5, 0, s4
	s_abs_i32 s14, s21
	s_mov_b32 s7, s15
	s_wait_alu 0xfffe
	s_cvt_u32_f32 s3, s3
	s_clause 0x2
	s_load_b64 s[44:45], s[0:1], 0x90
	s_load_b128 s[24:27], s[0:1], 0x98
	s_load_b64 s[46:47], s[0:1], 0xa8
	s_ashr_i32 s20, s21, 31
	s_add_nc_u64 s[8:9], s[0:1], 0xc0
	s_mul_i32 s5, s5, s3
	s_load_b32 s8, s[8:9], 0x0
	s_mul_hi_u32 s5, s3, s5
	s_clause 0x1
	s_load_b64 s[48:49], s[0:1], 0x0
	s_load_b128 s[28:31], s[0:1], 0x1c
	s_add_co_i32 s6, s3, s5
	s_ashr_i32 s3, s16, 31
	s_mul_u64 s[6:7], s[14:15], s[6:7]
	s_wait_alu 0xfffe
	s_xor_b32 s3, s20, s3
	s_mul_i32 s5, s7, s4
	s_add_co_i32 s6, s7, 1
	s_wait_alu 0xfffe
	s_sub_co_i32 s5, s14, s5
	s_load_b32 s16, s[0:1], 0x7c
	s_sub_co_i32 s10, s5, s4
	s_cmp_ge_u32 s5, s4
	s_clause 0x1
	s_load_b32 s60, s[0:1], 0x2c
	s_load_b64 s[50:51], s[0:1], 0x30
	s_cselect_b32 s6, s6, s7
	s_cselect_b32 s5, s10, s5
	s_add_co_i32 s7, s6, 1
	s_wait_alu 0xfffe
	s_cmp_ge_u32 s5, s4
	s_clause 0x1
	s_load_b64 s[52:53], s[0:1], 0x60
	s_load_b128 s[36:39], s[0:1], 0x50
	s_cselect_b32 s4, s7, s6
	s_add_co_i32 s6, s18, -3
	s_wait_alu 0xfffe
	s_xor_b32 s4, s4, s3
	s_mul_i32 s6, s19, s6
	s_ashr_i32 s5, s19, 31
	s_wait_alu 0xfffe
	s_sub_co_i32 s3, s4, s3
	s_ashr_i32 s7, s6, 31
	s_wait_kmcnt 0x0
	s_cmp_lg_u64 s[44:45], 0
	s_cvt_f32_u32 s10, s14
	s_cselect_b32 s33, -1, 0
	s_abs_i32 s58, s34
	s_abs_i32 s59, s23
	s_cvt_f32_u32 s4, s58
	s_cvt_f32_u32 s9, s59
	s_abs_i32 s61, s22
	s_wait_alu 0xfffe
	s_abs_i32 s64, s3
	v_rcp_iflag_f32_e32 v1, s4
	v_rcp_iflag_f32_e32 v2, s9
	s_cvt_f32_u32 s0, s61
	v_rcp_iflag_f32_e32 v3, s10
	s_cvt_f32_u32 s10, s64
	s_mul_i32 s62, s8, s2
	s_sub_co_i32 s8, 0, s58
	s_sub_co_i32 s9, 0, s59
	s_mov_b32 s4, s19
	s_ashr_i32 s63, s34, 31
	v_readfirstlane_b32 s1, v1
	v_rcp_iflag_f32_e32 v1, s0
	v_readfirstlane_b32 s0, v2
	s_ashr_i32 s66, s23, 31
	s_ashr_i32 s68, s22, 31
	s_mul_f32 s1, s1, 0x4f7ffffe
	s_ashr_i32 s71, s3, 31
	s_mul_f32 s0, s0, 0x4f7ffffe
	s_wait_alu 0xfffe
	s_mul_i32 s73, ttmp9, s2
	s_cvt_u32_f32 s1, s1
	s_lshl_b64 s[54:55], s[4:5], 1
	v_readfirstlane_b32 s11, v1
	v_rcp_iflag_f32_e32 v1, s10
	s_cvt_u32_f32 s0, s0
	s_wait_alu 0xfffe
	s_mul_i32 s8, s8, s1
	s_lshl_b64 s[56:57], s[6:7], 1
	s_wait_alu 0xfffe
	s_mul_hi_u32 s8, s1, s8
	s_mul_i32 s9, s9, s0
	s_mul_f32 s10, s11, 0x4f7ffffe
	s_wait_alu 0xfffe
	s_add_co_i32 s65, s1, s8
	s_mul_hi_u32 s1, s0, s9
	v_readfirstlane_b32 s9, v3
	s_wait_alu 0xfffe
	s_add_co_i32 s67, s0, s1
	v_readfirstlane_b32 s1, v1
	s_cvt_u32_f32 s8, s10
	s_sub_co_i32 s0, 0, s61
	s_mul_f32 s9, s9, 0x4f7ffffe
	s_wait_alu 0xfffe
	s_mul_i32 s0, s0, s8
	s_mul_f32 s1, s1, 0x4f7ffffe
	s_wait_alu 0xfffe
	s_mul_hi_u32 s0, s8, s0
	s_cvt_u32_f32 s9, s9
	s_wait_alu 0xfffe
	s_add_co_i32 s69, s8, s0
	s_sub_co_i32 s0, 0, s14
	s_cvt_u32_f32 s1, s1
	s_wait_alu 0xfffe
	s_mul_i32 s0, s0, s9
	s_sub_co_i32 s8, 0, s64
	s_wait_alu 0xfffe
	s_mul_hi_u32 s0, s9, s0
	s_mul_i32 s8, s8, s1
	s_wait_alu 0xfffe
	s_add_co_i32 s70, s9, s0
	s_mul_hi_u32 s0, s1, s8
	s_wait_alu 0xfffe
	s_add_co_i32 s72, s1, s0
	s_branch .LBB9_3
.LBB9_2:                                ;   in Loop: Header=BB9_3 Depth=1
	v_mul_lo_u32 v2, v9, s35
	v_mul_lo_u32 v4, s36, v1
	v_mul_lo_u32 v9, s37, v11
	v_bfe_u32 v5, v12, 16, 1
	v_mul_lo_u32 v1, s38, v10
	v_mul_lo_u32 v8, s39, v8
	s_delay_alu instid0(VALU_DEP_3) | instskip(SKIP_3) | instid1(VALU_DEP_4)
	v_add3_u32 v6, v12, v5, 0x7fff
	v_ashrrev_i32_e32 v3, 31, v2
	v_ashrrev_i32_e32 v5, 31, v4
	;; [unrolled: 1-line block ×3, first 2 shown]
	v_lshrrev_b32_e32 v11, 16, v6
	s_delay_alu instid0(VALU_DEP_4) | instskip(NEXT) | instid1(VALU_DEP_4)
	v_lshlrev_b64_e32 v[13:14], 1, v[2:3]
	v_lshlrev_b64_e32 v[3:4], 1, v[4:5]
	s_delay_alu instid0(VALU_DEP_4) | instskip(SKIP_1) | instid1(VALU_DEP_4)
	v_lshlrev_b64_e32 v[5:6], 1, v[9:10]
	v_ashrrev_i32_e32 v2, 31, v1
	v_add_co_u32 v9, vcc_lo, s50, v13
	s_wait_alu 0xfffd
	v_add_co_ci_u32_e64 v10, null, s51, v14, vcc_lo
	s_delay_alu instid0(VALU_DEP_3) | instskip(NEXT) | instid1(VALU_DEP_3)
	v_lshlrev_b64_e32 v[1:2], 1, v[1:2]
	v_add_co_u32 v3, vcc_lo, v9, v3
	s_wait_alu 0xfffd
	s_delay_alu instid0(VALU_DEP_3)
	v_add_co_ci_u32_e64 v4, null, v10, v4, vcc_lo
	v_cmp_o_f32_e32 vcc_lo, v12, v12
	v_ashrrev_i32_e32 v9, 31, v8
	s_wait_alu 0xfffd
	v_cndmask_b32_e32 v10, 0x7fc0, v11, vcc_lo
	v_add_co_u32 v11, vcc_lo, v3, v5
	s_wait_alu 0xfffd
	v_add_co_ci_u32_e64 v12, null, v4, v6, vcc_lo
	v_add_co_u32 v0, vcc_lo, v0, s62
	s_wait_alu 0xfffd
	v_add_co_ci_u32_e64 v7, null, 0, v7, vcc_lo
	v_lshlrev_b64_e32 v[3:4], 1, v[8:9]
	s_delay_alu instid0(VALU_DEP_3) | instskip(SKIP_1) | instid1(VALU_DEP_3)
	v_add_co_u32 v5, vcc_lo, s40, v0
	s_wait_alu 0xfffd
	v_add_co_ci_u32_e64 v6, null, s41, v7, vcc_lo
	v_add_co_u32 v1, vcc_lo, v11, v1
	s_wait_alu 0xfffd
	v_add_co_ci_u32_e64 v2, null, v12, v2, vcc_lo
	s_delay_alu instid0(VALU_DEP_3) | instskip(NEXT) | instid1(VALU_DEP_3)
	v_cmp_le_i64_e32 vcc_lo, s[42:43], v[5:6]
	v_add_co_u32 v1, s0, v1, v3
	s_wait_alu 0xf1ff
	s_delay_alu instid0(VALU_DEP_3)
	v_add_co_ci_u32_e64 v2, null, v2, v4, s0
	s_or_b32 s15, vcc_lo, s15
	global_store_b16 v[1:2], v10, off
	s_wait_alu 0xfffe
	s_and_not1_b32 exec_lo, exec_lo, s15
	s_cbranch_execz .LBB9_59
.LBB9_3:                                ; =>This Inner Loop Header: Depth=1
	v_add_nc_u32_e32 v2, s73, v0
	s_delay_alu instid0(VALU_DEP_1) | instskip(NEXT) | instid1(VALU_DEP_1)
	v_sub_nc_u32_e32 v1, 0, v2
	v_max_i32_e32 v1, v2, v1
	s_delay_alu instid0(VALU_DEP_1) | instskip(NEXT) | instid1(VALU_DEP_1)
	v_mul_hi_u32 v3, v1, s65
	v_mul_lo_u32 v4, v3, s58
	s_delay_alu instid0(VALU_DEP_1) | instskip(SKIP_1) | instid1(VALU_DEP_2)
	v_sub_nc_u32_e32 v1, v1, v4
	v_add_nc_u32_e32 v4, 1, v3
	v_subrev_nc_u32_e32 v5, s58, v1
	v_cmp_le_u32_e32 vcc_lo, s58, v1
	s_wait_alu 0xfffd
	s_delay_alu instid0(VALU_DEP_3) | instskip(NEXT) | instid1(VALU_DEP_3)
	v_cndmask_b32_e32 v3, v3, v4, vcc_lo
	v_cndmask_b32_e32 v1, v1, v5, vcc_lo
	v_ashrrev_i32_e32 v4, 31, v2
	s_delay_alu instid0(VALU_DEP_3) | instskip(NEXT) | instid1(VALU_DEP_3)
	v_add_nc_u32_e32 v5, 1, v3
	v_cmp_le_u32_e32 vcc_lo, s58, v1
	s_delay_alu instid0(VALU_DEP_3) | instskip(SKIP_1) | instid1(VALU_DEP_3)
	v_xor_b32_e32 v4, s63, v4
	s_wait_alu 0xfffd
	v_cndmask_b32_e32 v1, v3, v5, vcc_lo
	s_delay_alu instid0(VALU_DEP_1) | instskip(NEXT) | instid1(VALU_DEP_1)
	v_xor_b32_e32 v1, v1, v4
	v_sub_nc_u32_e32 v4, v1, v4
	s_delay_alu instid0(VALU_DEP_1) | instskip(NEXT) | instid1(VALU_DEP_1)
	v_sub_nc_u32_e32 v1, 0, v4
	v_max_i32_e32 v1, v4, v1
	s_delay_alu instid0(VALU_DEP_1) | instskip(NEXT) | instid1(VALU_DEP_1)
	v_mul_hi_u32 v3, v1, s67
	v_mul_lo_u32 v5, v3, s59
	s_delay_alu instid0(VALU_DEP_1) | instskip(SKIP_1) | instid1(VALU_DEP_2)
	v_sub_nc_u32_e32 v1, v1, v5
	v_add_nc_u32_e32 v5, 1, v3
	v_subrev_nc_u32_e32 v6, s59, v1
	v_cmp_le_u32_e32 vcc_lo, s59, v1
	s_wait_alu 0xfffd
	s_delay_alu instid0(VALU_DEP_3) | instskip(NEXT) | instid1(VALU_DEP_3)
	v_cndmask_b32_e32 v3, v3, v5, vcc_lo
	v_cndmask_b32_e32 v1, v1, v6, vcc_lo
	v_ashrrev_i32_e32 v5, 31, v4
	s_delay_alu instid0(VALU_DEP_3) | instskip(NEXT) | instid1(VALU_DEP_3)
	v_add_nc_u32_e32 v6, 1, v3
	v_cmp_le_u32_e32 vcc_lo, s59, v1
	s_delay_alu instid0(VALU_DEP_3) | instskip(SKIP_1) | instid1(VALU_DEP_3)
	v_xor_b32_e32 v5, s66, v5
	s_wait_alu 0xfffd
	v_cndmask_b32_e32 v1, v3, v6, vcc_lo
	s_delay_alu instid0(VALU_DEP_1) | instskip(NEXT) | instid1(VALU_DEP_1)
	v_xor_b32_e32 v1, v1, v5
	v_sub_nc_u32_e32 v5, v1, v5
	s_delay_alu instid0(VALU_DEP_1) | instskip(SKIP_1) | instid1(VALU_DEP_2)
	v_sub_nc_u32_e32 v1, 0, v5
	v_mul_lo_u32 v10, v5, s23
	v_max_i32_e32 v1, v5, v1
	s_delay_alu instid0(VALU_DEP_2) | instskip(NEXT) | instid1(VALU_DEP_2)
	v_sub_nc_u32_e32 v10, v4, v10
	v_mul_hi_u32 v3, v1, s69
	s_delay_alu instid0(VALU_DEP_2) | instskip(NEXT) | instid1(VALU_DEP_2)
	v_mul_lo_u32 v13, v10, s25
	v_mul_lo_u32 v6, v3, s61
	s_delay_alu instid0(VALU_DEP_1) | instskip(SKIP_1) | instid1(VALU_DEP_2)
	v_sub_nc_u32_e32 v1, v1, v6
	v_add_nc_u32_e32 v6, 1, v3
	v_subrev_nc_u32_e32 v8, s61, v1
	v_cmp_le_u32_e32 vcc_lo, s61, v1
	s_wait_alu 0xfffd
	s_delay_alu instid0(VALU_DEP_3) | instskip(NEXT) | instid1(VALU_DEP_3)
	v_cndmask_b32_e32 v3, v3, v6, vcc_lo
	v_cndmask_b32_e32 v1, v1, v8, vcc_lo
	v_ashrrev_i32_e32 v6, 31, v5
	s_delay_alu instid0(VALU_DEP_3) | instskip(NEXT) | instid1(VALU_DEP_3)
	v_add_nc_u32_e32 v8, 1, v3
	v_cmp_le_u32_e32 vcc_lo, s61, v1
	s_delay_alu instid0(VALU_DEP_3) | instskip(SKIP_1) | instid1(VALU_DEP_3)
	v_xor_b32_e32 v6, s68, v6
	s_wait_alu 0xfffd
	v_cndmask_b32_e32 v1, v3, v8, vcc_lo
	s_delay_alu instid0(VALU_DEP_1) | instskip(NEXT) | instid1(VALU_DEP_1)
	v_xor_b32_e32 v1, v1, v6
	v_sub_nc_u32_e32 v6, v1, v6
	s_delay_alu instid0(VALU_DEP_1) | instskip(NEXT) | instid1(VALU_DEP_1)
	v_sub_nc_u32_e32 v1, 0, v6
	v_max_i32_e32 v1, v6, v1
	s_delay_alu instid0(VALU_DEP_1) | instskip(NEXT) | instid1(VALU_DEP_1)
	v_mul_hi_u32 v3, v1, s70
	v_mul_lo_u32 v8, v3, s14
	s_delay_alu instid0(VALU_DEP_1) | instskip(SKIP_1) | instid1(VALU_DEP_2)
	v_sub_nc_u32_e32 v1, v1, v8
	v_add_nc_u32_e32 v8, 1, v3
	v_subrev_nc_u32_e32 v9, s14, v1
	v_cmp_le_u32_e32 vcc_lo, s14, v1
	s_wait_alu 0xfffd
	s_delay_alu instid0(VALU_DEP_3) | instskip(NEXT) | instid1(VALU_DEP_3)
	v_cndmask_b32_e32 v3, v3, v8, vcc_lo
	v_cndmask_b32_e32 v1, v1, v9, vcc_lo
	v_ashrrev_i32_e32 v8, 31, v6
	s_delay_alu instid0(VALU_DEP_3) | instskip(NEXT) | instid1(VALU_DEP_3)
	v_add_nc_u32_e32 v9, 1, v3
	v_cmp_le_u32_e32 vcc_lo, s14, v1
	s_delay_alu instid0(VALU_DEP_3) | instskip(SKIP_1) | instid1(VALU_DEP_3)
	v_xor_b32_e32 v8, s20, v8
	s_wait_alu 0xfffd
	v_cndmask_b32_e32 v1, v3, v9, vcc_lo
	v_mul_lo_u32 v3, v4, s34
	s_delay_alu instid0(VALU_DEP_2) | instskip(NEXT) | instid1(VALU_DEP_1)
	v_xor_b32_e32 v1, v1, v8
	v_sub_nc_u32_e32 v9, v1, v8
	s_delay_alu instid0(VALU_DEP_1) | instskip(NEXT) | instid1(VALU_DEP_1)
	v_mul_lo_u32 v1, v9, s21
	v_sub_nc_u32_e32 v1, v6, v1
	v_mul_lo_u32 v6, v6, s22
	s_delay_alu instid0(VALU_DEP_2) | instskip(NEXT) | instid1(VALU_DEP_1)
	v_sub_nc_u32_e32 v8, 0, v1
	v_max_i32_e32 v11, v1, v8
	v_sub_nc_u32_e32 v8, v2, v3
	s_delay_alu instid0(VALU_DEP_2) | instskip(NEXT) | instid1(VALU_DEP_2)
	v_mul_hi_u32 v2, v11, s72
	v_mul_lo_u32 v3, v8, s26
	s_delay_alu instid0(VALU_DEP_2) | instskip(SKIP_1) | instid1(VALU_DEP_3)
	v_mul_lo_u32 v12, v2, s64
	v_add_nc_u32_e32 v4, 1, v2
	v_subrev_nc_u32_e32 v15, s47, v3
	s_delay_alu instid0(VALU_DEP_1) | instskip(NEXT) | instid1(VALU_DEP_4)
	v_mul_lo_u32 v3, s60, v15
	v_sub_nc_u32_e32 v12, v11, v12
	v_sub_nc_u32_e32 v11, v5, v6
	v_cmp_lt_i32_e64 s0, -1, v15
	s_delay_alu instid0(VALU_DEP_3) | instskip(SKIP_2) | instid1(VALU_DEP_2)
	v_subrev_nc_u32_e32 v14, s64, v12
	v_cmp_le_u32_e32 vcc_lo, s64, v12
	s_wait_alu 0xfffd
	v_dual_cndmask_b32 v16, v2, v4 :: v_dual_cndmask_b32 v5, v12, v14
	v_ashrrev_i32_e32 v2, 31, v1
	v_ashrrev_i32_e32 v4, 31, v3
	v_mul_lo_u32 v12, v11, s24
	s_delay_alu instid0(VALU_DEP_4)
	v_add_nc_u32_e32 v6, 1, v16
	v_cmp_le_u32_e32 vcc_lo, s64, v5
	v_xor_b32_e32 v18, s71, v2
	v_subrev_nc_u32_e32 v14, s46, v13
	s_wait_alu 0xfffd
	v_cndmask_b32_e32 v6, v16, v6, vcc_lo
	v_lshlrev_b64_e32 v[16:17], 1, v[3:4]
	v_mul_lo_u32 v3, s28, v9
	v_subrev_nc_u32_e32 v13, s27, v12
	v_mul_lo_u32 v5, s31, v14
	v_xor_b32_e32 v19, v6, v18
	v_cmp_gt_i32_e64 s5, s18, v14
	v_cmp_gt_i32_e32 vcc_lo, s19, v15
	v_or_b32_e32 v12, v13, v14
	v_cmp_gt_i32_e64 s11, s17, v13
	v_sub_nc_u32_e32 v4, v19, v18
	v_mul_lo_u32 v18, s30, v13
	v_ashrrev_i32_e32 v6, 31, v5
	v_or_b32_e32 v22, v12, v15
	v_cmp_lt_i32_e64 s4, -1, v12
	v_mul_lo_u32 v20, s29, v4
	v_ashrrev_i32_e32 v4, 31, v3
	v_lshlrev_b64_e32 v[5:6], 1, v[5:6]
	v_cmp_lt_i32_e64 s1, -1, v22
	v_ashrrev_i32_e32 v19, 31, v18
	v_mul_lo_u32 v22, s16, v1
	v_lshlrev_b64_e32 v[3:4], 1, v[3:4]
	v_cmp_lt_i32_e64 s7, -1, v14
	v_ashrrev_i32_e32 v21, 31, v20
	v_lshlrev_b64_e32 v[18:19], 1, v[18:19]
	v_cmp_lt_i32_e64 s8, -1, v13
	v_add_co_u32 v3, s2, s48, v3
	s_delay_alu instid0(VALU_DEP_4)
	v_lshlrev_b64_e32 v[20:21], 1, v[20:21]
	s_wait_alu 0xf1ff
	v_add_co_ci_u32_e64 v4, null, s49, v4, s2
	s_and_b32 s2, s1, s11
	v_ashrrev_i32_e32 v23, 31, v22
	v_add_co_u32 v3, s1, v3, v20
	s_wait_alu 0xf1ff
	v_add_co_ci_u32_e64 v4, null, v4, v21, s1
	s_delay_alu instid0(VALU_DEP_2) | instskip(SKIP_1) | instid1(VALU_DEP_2)
	v_add_co_u32 v12, s1, v3, v18
	s_wait_alu 0xf1ff
	v_add_co_ci_u32_e64 v18, null, v4, v19, s1
	v_lshlrev_b64_e32 v[3:4], 1, v[22:23]
	s_delay_alu instid0(VALU_DEP_3) | instskip(SKIP_1) | instid1(VALU_DEP_3)
	v_add_co_u32 v5, s1, v12, v5
	s_wait_alu 0xf1ff
	v_add_co_ci_u32_e64 v6, null, v18, v6, s1
	v_mov_b32_e32 v12, 0
	s_delay_alu instid0(VALU_DEP_4)
	v_add_co_u32 v3, s1, s52, v3
	s_wait_alu 0xf1ff
	v_add_co_ci_u32_e64 v4, null, s53, v4, s1
	v_add_co_u32 v5, s1, v5, v16
	s_wait_alu 0xf1ff
	v_add_co_ci_u32_e64 v6, null, v6, v17, s1
	s_wait_alu 0xfffe
	s_and_b32 s1, s2, s5
	s_wait_alu 0xfffe
	s_and_b32 s2, s1, vcc_lo
	s_wait_alu 0xfffe
	s_and_saveexec_b32 s1, s2
	s_cbranch_execz .LBB9_5
; %bb.4:                                ;   in Loop: Header=BB9_3 Depth=1
	global_load_u16 v12, v[5:6], off
	global_load_u16 v16, v[3:4], off
	s_wait_loadcnt 0x1
	v_lshlrev_b32_e32 v12, 16, v12
	s_wait_loadcnt 0x0
	v_lshlrev_b32_e32 v16, 16, v16
	s_delay_alu instid0(VALU_DEP_1)
	v_fma_f32 v12, v16, v12, 0
.LBB9_5:                                ;   in Loop: Header=BB9_3 Depth=1
	s_wait_alu 0xfffe
	s_or_b32 exec_lo, exec_lo, s1
	v_cmp_lt_i32_e64 s1, -2, v15
	v_add_nc_u32_e32 v16, 1, v15
	s_and_b32 s3, s4, s1
	s_delay_alu instid0(VALU_DEP_1)
	v_cmp_gt_i32_e64 s2, s19, v16
	s_wait_alu 0xfffe
	s_and_b32 s3, s3, s11
	s_wait_alu 0xfffe
	s_and_b32 s3, s3, s5
	;; [unrolled: 2-line block ×3, first 2 shown]
	s_delay_alu instid0(SALU_CYCLE_1)
	s_and_saveexec_b32 s3, s6
	s_cbranch_execz .LBB9_7
; %bb.6:                                ;   in Loop: Header=BB9_3 Depth=1
	global_load_u16 v16, v[5:6], off offset:2
	global_load_u16 v17, v[3:4], off offset:2
	s_wait_loadcnt 0x1
	v_lshlrev_b32_e32 v16, 16, v16
	s_wait_loadcnt 0x0
	v_lshlrev_b32_e32 v17, 16, v17
	s_delay_alu instid0(VALU_DEP_1)
	v_fmac_f32_e32 v12, v17, v16
.LBB9_7:                                ;   in Loop: Header=BB9_3 Depth=1
	s_wait_alu 0xfffe
	s_or_b32 exec_lo, exec_lo, s3
	v_cmp_lt_i32_e64 s3, -3, v15
	v_add_nc_u32_e32 v15, 2, v15
	s_and_b32 s6, s4, s3
	s_delay_alu instid0(VALU_DEP_1) | instskip(SKIP_1) | instid1(SALU_CYCLE_1)
	v_cmp_gt_i32_e64 s4, s19, v15
	s_and_b32 s6, s6, s11
	s_and_b32 s6, s6, s5
	s_delay_alu instid0(SALU_CYCLE_1)
	s_and_b32 s9, s6, s4
	s_wait_alu 0xfffe
	s_and_saveexec_b32 s6, s9
	s_cbranch_execz .LBB9_9
; %bb.8:                                ;   in Loop: Header=BB9_3 Depth=1
	global_load_u16 v15, v[5:6], off offset:4
	global_load_u16 v16, v[3:4], off offset:4
	s_wait_loadcnt 0x1
	v_lshlrev_b32_e32 v15, 16, v15
	s_wait_loadcnt 0x0
	v_lshlrev_b32_e32 v16, 16, v16
	s_delay_alu instid0(VALU_DEP_1)
	v_fmac_f32_e32 v12, v16, v15
.LBB9_9:                                ;   in Loop: Header=BB9_3 Depth=1
	s_or_b32 exec_lo, exec_lo, s6
	v_cmp_lt_i32_e64 s9, -2, v14
	v_add_nc_u32_e32 v15, 1, v14
	s_and_b32 s12, s8, s9
	s_delay_alu instid0(VALU_DEP_1)
	v_cmp_gt_i32_e64 s6, s18, v15
	s_wait_alu 0xfffe
	s_and_b32 s10, s12, s0
	s_wait_alu 0xfffe
	s_and_b32 s13, s10, s11
	v_add_co_u32 v5, s10, v5, s54
	s_wait_alu 0xf1ff
	v_add_co_ci_u32_e64 v6, null, s55, v6, s10
	s_wait_alu 0xfffe
	s_and_b32 s10, s13, s6
	s_wait_alu 0xfffe
	s_and_b32 s13, s10, vcc_lo
	s_wait_alu 0xfffe
	s_and_saveexec_b32 s10, s13
	s_cbranch_execz .LBB9_11
; %bb.10:                               ;   in Loop: Header=BB9_3 Depth=1
	global_load_u16 v15, v[5:6], off
	global_load_u16 v16, v[3:4], off offset:6
	s_wait_loadcnt 0x1
	v_lshlrev_b32_e32 v15, 16, v15
	s_wait_loadcnt 0x0
	v_lshlrev_b32_e32 v16, 16, v16
	s_delay_alu instid0(VALU_DEP_1)
	v_fmac_f32_e32 v12, v16, v15
.LBB9_11:                               ;   in Loop: Header=BB9_3 Depth=1
	s_wait_alu 0xfffe
	s_or_b32 exec_lo, exec_lo, s10
	s_and_b32 s10, s12, s1
	s_wait_alu 0xfffe
	s_and_b32 s10, s10, s11
	s_wait_alu 0xfffe
	;; [unrolled: 2-line block ×4, first 2 shown]
	s_and_saveexec_b32 s10, s13
	s_cbranch_execz .LBB9_13
; %bb.12:                               ;   in Loop: Header=BB9_3 Depth=1
	global_load_u16 v15, v[5:6], off offset:2
	global_load_u16 v16, v[3:4], off offset:8
	s_wait_loadcnt 0x1
	v_lshlrev_b32_e32 v15, 16, v15
	s_wait_loadcnt 0x0
	v_lshlrev_b32_e32 v16, 16, v16
	s_delay_alu instid0(VALU_DEP_1)
	v_fmac_f32_e32 v12, v16, v15
.LBB9_13:                               ;   in Loop: Header=BB9_3 Depth=1
	s_wait_alu 0xfffe
	s_or_b32 exec_lo, exec_lo, s10
	s_and_b32 s10, s12, s3
	s_wait_alu 0xfffe
	s_and_b32 s10, s10, s11
	s_wait_alu 0xfffe
	s_and_b32 s10, s10, s6
	s_wait_alu 0xfffe
	s_and_b32 s12, s10, s4
	s_wait_alu 0xfffe
	s_and_saveexec_b32 s10, s12
	s_cbranch_execz .LBB9_15
; %bb.14:                               ;   in Loop: Header=BB9_3 Depth=1
	global_load_u16 v15, v[5:6], off offset:4
	global_load_u16 v16, v[3:4], off offset:10
	s_wait_loadcnt 0x1
	v_lshlrev_b32_e32 v15, 16, v15
	s_wait_loadcnt 0x0
	v_lshlrev_b32_e32 v16, 16, v16
	s_delay_alu instid0(VALU_DEP_1)
	v_fmac_f32_e32 v12, v16, v15
.LBB9_15:                               ;   in Loop: Header=BB9_3 Depth=1
	s_wait_alu 0xfffe
	s_or_b32 exec_lo, exec_lo, s10
	v_cmp_lt_i32_e64 s10, -3, v14
	v_add_nc_u32_e32 v14, 2, v14
	s_and_b32 s13, s8, s10
	s_delay_alu instid0(VALU_DEP_1)
	v_cmp_gt_i32_e64 s8, s18, v14
	s_wait_alu 0xfffe
	s_and_b32 s12, s13, s0
	s_wait_alu 0xfffe
	s_and_b32 s74, s12, s11
	v_add_co_u32 v5, s12, v5, s54
	s_wait_alu 0xf1ff
	v_add_co_ci_u32_e64 v6, null, s55, v6, s12
	s_and_b32 s12, s74, s8
	s_wait_alu 0xfffe
	s_and_b32 s74, s12, vcc_lo
	s_delay_alu instid0(SALU_CYCLE_1)
	s_and_saveexec_b32 s12, s74
	s_cbranch_execz .LBB9_17
; %bb.16:                               ;   in Loop: Header=BB9_3 Depth=1
	global_load_u16 v14, v[5:6], off
	global_load_u16 v15, v[3:4], off offset:12
	s_wait_loadcnt 0x1
	v_lshlrev_b32_e32 v14, 16, v14
	s_wait_loadcnt 0x0
	v_lshlrev_b32_e32 v15, 16, v15
	s_delay_alu instid0(VALU_DEP_1)
	v_fmac_f32_e32 v12, v15, v14
.LBB9_17:                               ;   in Loop: Header=BB9_3 Depth=1
	s_wait_alu 0xfffe
	s_or_b32 exec_lo, exec_lo, s12
	s_and_b32 s12, s13, s1
	s_wait_alu 0xfffe
	s_and_b32 s12, s12, s11
	s_wait_alu 0xfffe
	;; [unrolled: 2-line block ×3, first 2 shown]
	s_and_b32 s74, s12, s2
	s_delay_alu instid0(SALU_CYCLE_1)
	s_and_saveexec_b32 s12, s74
	s_cbranch_execz .LBB9_19
; %bb.18:                               ;   in Loop: Header=BB9_3 Depth=1
	global_load_u16 v14, v[5:6], off offset:2
	global_load_u16 v15, v[3:4], off offset:14
	s_wait_loadcnt 0x1
	v_lshlrev_b32_e32 v14, 16, v14
	s_wait_loadcnt 0x0
	v_lshlrev_b32_e32 v15, 16, v15
	s_delay_alu instid0(VALU_DEP_1)
	v_fmac_f32_e32 v12, v15, v14
.LBB9_19:                               ;   in Loop: Header=BB9_3 Depth=1
	s_wait_alu 0xfffe
	s_or_b32 exec_lo, exec_lo, s12
	s_and_b32 s12, s13, s3
	s_wait_alu 0xfffe
	s_and_b32 s11, s12, s11
	s_wait_alu 0xfffe
	;; [unrolled: 2-line block ×4, first 2 shown]
	s_and_saveexec_b32 s11, s12
	s_cbranch_execz .LBB9_21
; %bb.20:                               ;   in Loop: Header=BB9_3 Depth=1
	global_load_u16 v14, v[5:6], off offset:4
	global_load_u16 v15, v[3:4], off offset:16
	s_wait_loadcnt 0x1
	v_lshlrev_b32_e32 v14, 16, v14
	s_wait_loadcnt 0x0
	v_lshlrev_b32_e32 v15, 16, v15
	s_delay_alu instid0(VALU_DEP_1)
	v_fmac_f32_e32 v12, v15, v14
.LBB9_21:                               ;   in Loop: Header=BB9_3 Depth=1
	s_wait_alu 0xfffe
	s_or_b32 exec_lo, exec_lo, s11
	v_add_nc_u32_e32 v14, 1, v13
	v_cmp_lt_i32_e64 s12, -2, v13
	v_add_co_u32 v5, s13, v5, s54
	s_wait_alu 0xf1ff
	v_add_co_ci_u32_e64 v6, null, s55, v6, s13
	v_cmp_gt_i32_e64 s11, s17, v14
	s_and_b32 s74, s12, s7
	v_add_co_u32 v5, s13, v5, s56
	s_and_b32 s75, s74, s0
	v_add_co_ci_u32_e64 v6, null, s57, v6, s13
	s_and_b32 s75, s75, s11
	s_delay_alu instid0(SALU_CYCLE_1) | instskip(SKIP_2) | instid1(SALU_CYCLE_1)
	s_and_b32 s13, s75, s5
	s_wait_alu 0xfffe
	s_and_b32 s75, s13, vcc_lo
	s_and_saveexec_b32 s13, s75
	s_cbranch_execz .LBB9_23
; %bb.22:                               ;   in Loop: Header=BB9_3 Depth=1
	global_load_u16 v14, v[5:6], off
	global_load_u16 v15, v[3:4], off offset:18
	s_wait_loadcnt 0x1
	v_lshlrev_b32_e32 v14, 16, v14
	s_wait_loadcnt 0x0
	v_lshlrev_b32_e32 v15, 16, v15
	s_delay_alu instid0(VALU_DEP_1)
	v_fmac_f32_e32 v12, v15, v14
.LBB9_23:                               ;   in Loop: Header=BB9_3 Depth=1
	s_wait_alu 0xfffe
	s_or_b32 exec_lo, exec_lo, s13
	s_and_b32 s13, s74, s1
	s_wait_alu 0xfffe
	s_and_b32 s13, s13, s11
	s_wait_alu 0xfffe
	;; [unrolled: 2-line block ×3, first 2 shown]
	s_and_b32 s75, s13, s2
	s_delay_alu instid0(SALU_CYCLE_1)
	s_and_saveexec_b32 s13, s75
	s_cbranch_execz .LBB9_25
; %bb.24:                               ;   in Loop: Header=BB9_3 Depth=1
	global_load_u16 v14, v[5:6], off offset:2
	global_load_u16 v15, v[3:4], off offset:20
	s_wait_loadcnt 0x1
	v_lshlrev_b32_e32 v14, 16, v14
	s_wait_loadcnt 0x0
	v_lshlrev_b32_e32 v15, 16, v15
	s_delay_alu instid0(VALU_DEP_1)
	v_fmac_f32_e32 v12, v15, v14
.LBB9_25:                               ;   in Loop: Header=BB9_3 Depth=1
	s_wait_alu 0xfffe
	s_or_b32 exec_lo, exec_lo, s13
	s_and_b32 s13, s74, s3
	s_wait_alu 0xfffe
	s_and_b32 s13, s13, s11
	s_wait_alu 0xfffe
	;; [unrolled: 2-line block ×3, first 2 shown]
	s_and_b32 s74, s13, s4
	s_delay_alu instid0(SALU_CYCLE_1)
	s_and_saveexec_b32 s13, s74
	s_cbranch_execz .LBB9_27
; %bb.26:                               ;   in Loop: Header=BB9_3 Depth=1
	global_load_u16 v14, v[5:6], off offset:4
	global_load_u16 v15, v[3:4], off offset:22
	s_wait_loadcnt 0x1
	v_lshlrev_b32_e32 v14, 16, v14
	s_wait_loadcnt 0x0
	v_lshlrev_b32_e32 v15, 16, v15
	s_delay_alu instid0(VALU_DEP_1)
	v_fmac_f32_e32 v12, v15, v14
.LBB9_27:                               ;   in Loop: Header=BB9_3 Depth=1
	s_wait_alu 0xfffe
	s_or_b32 exec_lo, exec_lo, s13
	s_and_b32 s74, s12, s9
	s_delay_alu instid0(SALU_CYCLE_1)
	s_and_b32 s13, s74, s0
	s_wait_alu 0xfffe
	s_and_b32 s75, s13, s11
	v_add_co_u32 v5, s13, v5, s54
	s_wait_alu 0xf1ff
	v_add_co_ci_u32_e64 v6, null, s55, v6, s13
	s_and_b32 s13, s75, s6
	s_wait_alu 0xfffe
	s_and_b32 s75, s13, vcc_lo
	s_delay_alu instid0(SALU_CYCLE_1)
	s_and_saveexec_b32 s13, s75
	s_cbranch_execz .LBB9_29
; %bb.28:                               ;   in Loop: Header=BB9_3 Depth=1
	global_load_u16 v14, v[5:6], off
	global_load_u16 v15, v[3:4], off offset:24
	s_wait_loadcnt 0x1
	v_lshlrev_b32_e32 v14, 16, v14
	s_wait_loadcnt 0x0
	v_lshlrev_b32_e32 v15, 16, v15
	s_delay_alu instid0(VALU_DEP_1)
	v_fmac_f32_e32 v12, v15, v14
.LBB9_29:                               ;   in Loop: Header=BB9_3 Depth=1
	s_wait_alu 0xfffe
	s_or_b32 exec_lo, exec_lo, s13
	s_and_b32 s13, s74, s1
	s_wait_alu 0xfffe
	s_and_b32 s13, s13, s11
	s_wait_alu 0xfffe
	;; [unrolled: 2-line block ×3, first 2 shown]
	s_and_b32 s75, s13, s2
	s_delay_alu instid0(SALU_CYCLE_1)
	s_and_saveexec_b32 s13, s75
	s_cbranch_execz .LBB9_31
; %bb.30:                               ;   in Loop: Header=BB9_3 Depth=1
	global_load_u16 v14, v[5:6], off offset:2
	global_load_u16 v15, v[3:4], off offset:26
	s_wait_loadcnt 0x1
	v_lshlrev_b32_e32 v14, 16, v14
	s_wait_loadcnt 0x0
	v_lshlrev_b32_e32 v15, 16, v15
	s_delay_alu instid0(VALU_DEP_1)
	v_fmac_f32_e32 v12, v15, v14
.LBB9_31:                               ;   in Loop: Header=BB9_3 Depth=1
	s_wait_alu 0xfffe
	s_or_b32 exec_lo, exec_lo, s13
	s_and_b32 s13, s74, s3
	s_wait_alu 0xfffe
	s_and_b32 s13, s13, s11
	s_wait_alu 0xfffe
	;; [unrolled: 2-line block ×3, first 2 shown]
	s_and_b32 s74, s13, s4
	s_delay_alu instid0(SALU_CYCLE_1)
	s_and_saveexec_b32 s13, s74
	s_cbranch_execz .LBB9_33
; %bb.32:                               ;   in Loop: Header=BB9_3 Depth=1
	global_load_u16 v14, v[5:6], off offset:4
	global_load_u16 v15, v[3:4], off offset:28
	s_wait_loadcnt 0x1
	v_lshlrev_b32_e32 v14, 16, v14
	s_wait_loadcnt 0x0
	v_lshlrev_b32_e32 v15, 16, v15
	s_delay_alu instid0(VALU_DEP_1)
	v_fmac_f32_e32 v12, v15, v14
.LBB9_33:                               ;   in Loop: Header=BB9_3 Depth=1
	s_wait_alu 0xfffe
	s_or_b32 exec_lo, exec_lo, s13
	s_and_b32 s13, s12, s10
	s_wait_alu 0xfffe
	s_and_b32 s12, s13, s0
	s_wait_alu 0xfffe
	s_and_b32 s74, s12, s11
	v_add_co_u32 v5, s12, v5, s54
	s_wait_alu 0xf1ff
	v_add_co_ci_u32_e64 v6, null, s55, v6, s12
	s_and_b32 s12, s74, s8
	s_wait_alu 0xfffe
	s_and_b32 s74, s12, vcc_lo
	s_delay_alu instid0(SALU_CYCLE_1)
	s_and_saveexec_b32 s12, s74
	s_cbranch_execz .LBB9_35
; %bb.34:                               ;   in Loop: Header=BB9_3 Depth=1
	global_load_u16 v14, v[5:6], off
	global_load_u16 v15, v[3:4], off offset:30
	s_wait_loadcnt 0x1
	v_lshlrev_b32_e32 v14, 16, v14
	s_wait_loadcnt 0x0
	v_lshlrev_b32_e32 v15, 16, v15
	s_delay_alu instid0(VALU_DEP_1)
	v_fmac_f32_e32 v12, v15, v14
.LBB9_35:                               ;   in Loop: Header=BB9_3 Depth=1
	s_wait_alu 0xfffe
	s_or_b32 exec_lo, exec_lo, s12
	s_and_b32 s12, s13, s1
	s_wait_alu 0xfffe
	s_and_b32 s12, s12, s11
	s_wait_alu 0xfffe
	;; [unrolled: 2-line block ×3, first 2 shown]
	s_and_b32 s74, s12, s2
	s_delay_alu instid0(SALU_CYCLE_1)
	s_and_saveexec_b32 s12, s74
	s_cbranch_execz .LBB9_37
; %bb.36:                               ;   in Loop: Header=BB9_3 Depth=1
	global_load_u16 v14, v[5:6], off offset:2
	global_load_u16 v15, v[3:4], off offset:32
	s_wait_loadcnt 0x1
	v_lshlrev_b32_e32 v14, 16, v14
	s_wait_loadcnt 0x0
	v_lshlrev_b32_e32 v15, 16, v15
	s_delay_alu instid0(VALU_DEP_1)
	v_fmac_f32_e32 v12, v15, v14
.LBB9_37:                               ;   in Loop: Header=BB9_3 Depth=1
	s_wait_alu 0xfffe
	s_or_b32 exec_lo, exec_lo, s12
	s_and_b32 s12, s13, s3
	s_wait_alu 0xfffe
	s_and_b32 s11, s12, s11
	s_wait_alu 0xfffe
	;; [unrolled: 2-line block ×4, first 2 shown]
	s_and_saveexec_b32 s11, s12
	s_cbranch_execz .LBB9_39
; %bb.38:                               ;   in Loop: Header=BB9_3 Depth=1
	global_load_u16 v14, v[5:6], off offset:4
	global_load_u16 v15, v[3:4], off offset:34
	s_wait_loadcnt 0x1
	v_lshlrev_b32_e32 v14, 16, v14
	s_wait_loadcnt 0x0
	v_lshlrev_b32_e32 v15, 16, v15
	s_delay_alu instid0(VALU_DEP_1)
	v_fmac_f32_e32 v12, v15, v14
.LBB9_39:                               ;   in Loop: Header=BB9_3 Depth=1
	s_wait_alu 0xfffe
	s_or_b32 exec_lo, exec_lo, s11
	v_cmp_lt_i32_e64 s11, -3, v13
	v_add_nc_u32_e32 v13, 2, v13
	v_add_co_u32 v5, s12, v5, s54
	s_wait_alu 0xf1ff
	v_add_co_ci_u32_e64 v6, null, s55, v6, s12
	s_and_b32 s13, s11, s7
	v_cmp_gt_i32_e64 s7, s17, v13
	s_wait_alu 0xfffe
	s_and_b32 s74, s13, s0
	v_add_co_u32 v5, s12, v5, s56
	s_wait_alu 0xf1ff
	v_add_co_ci_u32_e64 v6, null, s57, v6, s12
	s_and_b32 s74, s74, s7
	s_delay_alu instid0(SALU_CYCLE_1) | instskip(SKIP_2) | instid1(SALU_CYCLE_1)
	s_and_b32 s12, s74, s5
	s_wait_alu 0xfffe
	s_and_b32 s74, s12, vcc_lo
	s_and_saveexec_b32 s12, s74
	s_cbranch_execz .LBB9_41
; %bb.40:                               ;   in Loop: Header=BB9_3 Depth=1
	global_load_u16 v13, v[5:6], off
	global_load_u16 v14, v[3:4], off offset:36
	s_wait_loadcnt 0x1
	v_lshlrev_b32_e32 v13, 16, v13
	s_wait_loadcnt 0x0
	v_lshlrev_b32_e32 v14, 16, v14
	s_delay_alu instid0(VALU_DEP_1)
	v_fmac_f32_e32 v12, v14, v13
.LBB9_41:                               ;   in Loop: Header=BB9_3 Depth=1
	s_wait_alu 0xfffe
	s_or_b32 exec_lo, exec_lo, s12
	s_and_b32 s12, s13, s1
	s_wait_alu 0xfffe
	s_and_b32 s12, s12, s7
	s_wait_alu 0xfffe
	;; [unrolled: 2-line block ×3, first 2 shown]
	s_and_b32 s74, s12, s2
	s_delay_alu instid0(SALU_CYCLE_1)
	s_and_saveexec_b32 s12, s74
	s_cbranch_execz .LBB9_43
; %bb.42:                               ;   in Loop: Header=BB9_3 Depth=1
	global_load_u16 v13, v[5:6], off offset:2
	global_load_u16 v14, v[3:4], off offset:38
	s_wait_loadcnt 0x1
	v_lshlrev_b32_e32 v13, 16, v13
	s_wait_loadcnt 0x0
	v_lshlrev_b32_e32 v14, 16, v14
	s_delay_alu instid0(VALU_DEP_1)
	v_fmac_f32_e32 v12, v14, v13
.LBB9_43:                               ;   in Loop: Header=BB9_3 Depth=1
	s_wait_alu 0xfffe
	s_or_b32 exec_lo, exec_lo, s12
	s_and_b32 s12, s13, s3
	s_wait_alu 0xfffe
	s_and_b32 s12, s12, s7
	s_wait_alu 0xfffe
	;; [unrolled: 2-line block ×4, first 2 shown]
	s_and_saveexec_b32 s5, s12
	s_cbranch_execz .LBB9_45
; %bb.44:                               ;   in Loop: Header=BB9_3 Depth=1
	global_load_u16 v13, v[5:6], off offset:4
	global_load_u16 v14, v[3:4], off offset:40
	s_wait_loadcnt 0x1
	v_lshlrev_b32_e32 v13, 16, v13
	s_wait_loadcnt 0x0
	v_lshlrev_b32_e32 v14, 16, v14
	s_delay_alu instid0(VALU_DEP_1)
	v_fmac_f32_e32 v12, v14, v13
.LBB9_45:                               ;   in Loop: Header=BB9_3 Depth=1
	s_wait_alu 0xfffe
	s_or_b32 exec_lo, exec_lo, s5
	s_and_b32 s9, s11, s9
	s_wait_alu 0xfffe
	s_and_b32 s5, s9, s0
	s_wait_alu 0xfffe
	s_and_b32 s12, s5, s7
	v_add_co_u32 v5, s5, v5, s54
	s_wait_alu 0xf1ff
	v_add_co_ci_u32_e64 v6, null, s55, v6, s5
	s_wait_alu 0xfffe
	s_and_b32 s5, s12, s6
	s_wait_alu 0xfffe
	s_and_b32 s12, s5, vcc_lo
	s_wait_alu 0xfffe
	s_and_saveexec_b32 s5, s12
	s_cbranch_execz .LBB9_47
; %bb.46:                               ;   in Loop: Header=BB9_3 Depth=1
	global_load_u16 v13, v[5:6], off
	global_load_u16 v14, v[3:4], off offset:42
	s_wait_loadcnt 0x1
	v_lshlrev_b32_e32 v13, 16, v13
	s_wait_loadcnt 0x0
	v_lshlrev_b32_e32 v14, 16, v14
	s_delay_alu instid0(VALU_DEP_1)
	v_fmac_f32_e32 v12, v14, v13
.LBB9_47:                               ;   in Loop: Header=BB9_3 Depth=1
	s_wait_alu 0xfffe
	s_or_b32 exec_lo, exec_lo, s5
	s_and_b32 s5, s9, s1
	s_wait_alu 0xfffe
	s_and_b32 s5, s5, s7
	s_wait_alu 0xfffe
	;; [unrolled: 2-line block ×4, first 2 shown]
	s_and_saveexec_b32 s5, s12
	s_cbranch_execz .LBB9_49
; %bb.48:                               ;   in Loop: Header=BB9_3 Depth=1
	global_load_u16 v13, v[5:6], off offset:2
	global_load_u16 v14, v[3:4], off offset:44
	s_wait_loadcnt 0x1
	v_lshlrev_b32_e32 v13, 16, v13
	s_wait_loadcnt 0x0
	v_lshlrev_b32_e32 v14, 16, v14
	s_delay_alu instid0(VALU_DEP_1)
	v_fmac_f32_e32 v12, v14, v13
.LBB9_49:                               ;   in Loop: Header=BB9_3 Depth=1
	s_wait_alu 0xfffe
	s_or_b32 exec_lo, exec_lo, s5
	s_and_b32 s5, s9, s3
	s_wait_alu 0xfffe
	s_and_b32 s5, s5, s7
	s_wait_alu 0xfffe
	;; [unrolled: 2-line block ×3, first 2 shown]
	s_and_b32 s6, s5, s4
	s_delay_alu instid0(SALU_CYCLE_1)
	s_and_saveexec_b32 s5, s6
	s_cbranch_execz .LBB9_51
; %bb.50:                               ;   in Loop: Header=BB9_3 Depth=1
	global_load_u16 v13, v[5:6], off offset:4
	global_load_u16 v14, v[3:4], off offset:46
	s_wait_loadcnt 0x1
	v_lshlrev_b32_e32 v13, 16, v13
	s_wait_loadcnt 0x0
	v_lshlrev_b32_e32 v14, 16, v14
	s_delay_alu instid0(VALU_DEP_1)
	v_fmac_f32_e32 v12, v14, v13
.LBB9_51:                               ;   in Loop: Header=BB9_3 Depth=1
	s_wait_alu 0xfffe
	s_or_b32 exec_lo, exec_lo, s5
	s_and_b32 s5, s11, s10
	s_wait_alu 0xfffe
	s_and_b32 s0, s5, s0
	s_wait_alu 0xfffe
	s_and_b32 s6, s0, s7
	v_add_co_u32 v5, s0, v5, s54
	s_wait_alu 0xf1ff
	v_add_co_ci_u32_e64 v6, null, s55, v6, s0
	s_and_b32 s0, s6, s8
	s_wait_alu 0xfffe
	s_and_b32 s6, s0, vcc_lo
	s_delay_alu instid0(SALU_CYCLE_1)
	s_and_saveexec_b32 s0, s6
	s_cbranch_execz .LBB9_53
; %bb.52:                               ;   in Loop: Header=BB9_3 Depth=1
	global_load_u16 v13, v[5:6], off
	global_load_u16 v14, v[3:4], off offset:48
	s_wait_loadcnt 0x1
	v_lshlrev_b32_e32 v13, 16, v13
	s_wait_loadcnt 0x0
	v_lshlrev_b32_e32 v14, 16, v14
	s_delay_alu instid0(VALU_DEP_1)
	v_fmac_f32_e32 v12, v14, v13
.LBB9_53:                               ;   in Loop: Header=BB9_3 Depth=1
	s_wait_alu 0xfffe
	s_or_b32 exec_lo, exec_lo, s0
	s_and_b32 s0, s5, s1
	s_wait_alu 0xfffe
	s_and_b32 s0, s0, s7
	s_wait_alu 0xfffe
	;; [unrolled: 2-line block ×4, first 2 shown]
	s_and_saveexec_b32 s0, s1
	s_cbranch_execz .LBB9_55
; %bb.54:                               ;   in Loop: Header=BB9_3 Depth=1
	global_load_u16 v13, v[5:6], off offset:2
	global_load_u16 v14, v[3:4], off offset:50
	s_wait_loadcnt 0x1
	v_lshlrev_b32_e32 v13, 16, v13
	s_wait_loadcnt 0x0
	v_lshlrev_b32_e32 v14, 16, v14
	s_delay_alu instid0(VALU_DEP_1)
	v_fmac_f32_e32 v12, v14, v13
.LBB9_55:                               ;   in Loop: Header=BB9_3 Depth=1
	s_wait_alu 0xfffe
	s_or_b32 exec_lo, exec_lo, s0
	s_and_b32 s0, s5, s3
	s_wait_alu 0xfffe
	s_and_b32 s0, s0, s7
	s_wait_alu 0xfffe
	;; [unrolled: 2-line block ×4, first 2 shown]
	s_and_saveexec_b32 s0, s1
	s_cbranch_execz .LBB9_57
; %bb.56:                               ;   in Loop: Header=BB9_3 Depth=1
	global_load_u16 v5, v[5:6], off offset:4
	global_load_u16 v3, v[3:4], off offset:52
	s_wait_loadcnt 0x1
	v_lshlrev_b32_e32 v4, 16, v5
	s_wait_loadcnt 0x0
	v_lshlrev_b32_e32 v3, 16, v3
	s_delay_alu instid0(VALU_DEP_1)
	v_fmac_f32_e32 v12, v3, v4
.LBB9_57:                               ;   in Loop: Header=BB9_3 Depth=1
	s_wait_alu 0xfffe
	s_or_b32 exec_lo, exec_lo, s0
	s_delay_alu instid0(SALU_CYCLE_1)
	s_and_not1_b32 vcc_lo, exec_lo, s33
	s_wait_alu 0xfffe
	s_cbranch_vccnz .LBB9_2
; %bb.58:                               ;   in Loop: Header=BB9_3 Depth=1
	v_lshlrev_b64_e32 v[2:3], 1, v[1:2]
	s_delay_alu instid0(VALU_DEP_1) | instskip(SKIP_1) | instid1(VALU_DEP_2)
	v_add_co_u32 v2, vcc_lo, s44, v2
	s_wait_alu 0xfffd
	v_add_co_ci_u32_e64 v3, null, s45, v3, vcc_lo
	global_load_u16 v2, v[2:3], off
	s_wait_loadcnt 0x0
	v_lshlrev_b32_e32 v2, 16, v2
	s_delay_alu instid0(VALU_DEP_1)
	v_add_f32_e32 v12, v12, v2
	s_branch .LBB9_2
.LBB9_59:
	s_endpgm
	.section	.rodata,"a",@progbits
	.p2align	6, 0x0
	.amdhsa_kernel _ZN2at6native12_GLOBAL__N_128conv_depthwise3d_cuda_kernelIN3c108BFloat16EfLi3ELi3ELi3ELi1ELi1ELi1EEEvN5torch10headeronly6detail27GenericPackedTensorAccessorINS7_14TensorAccessorINS3_8ArrayRefIlEEKT_Lm4ENS6_16DefaultPtrTraitsEiEENS_6detail16IndexBoundsCheckILm5EiEESD_Lm5ESE_iEENS8_INS9_ISB_SC_Lm4ESE_iEESI_SC_Lm5ESE_iEESJ_PSD_iiiiiiiii
		.amdhsa_group_segment_fixed_size 0
		.amdhsa_private_segment_fixed_size 0
		.amdhsa_kernarg_size 448
		.amdhsa_user_sgpr_count 2
		.amdhsa_user_sgpr_dispatch_ptr 0
		.amdhsa_user_sgpr_queue_ptr 0
		.amdhsa_user_sgpr_kernarg_segment_ptr 1
		.amdhsa_user_sgpr_dispatch_id 0
		.amdhsa_user_sgpr_private_segment_size 0
		.amdhsa_wavefront_size32 1
		.amdhsa_uses_dynamic_stack 0
		.amdhsa_enable_private_segment 0
		.amdhsa_system_sgpr_workgroup_id_x 1
		.amdhsa_system_sgpr_workgroup_id_y 0
		.amdhsa_system_sgpr_workgroup_id_z 0
		.amdhsa_system_sgpr_workgroup_info 0
		.amdhsa_system_vgpr_workitem_id 0
		.amdhsa_next_free_vgpr 24
		.amdhsa_next_free_sgpr 76
		.amdhsa_reserve_vcc 1
		.amdhsa_float_round_mode_32 0
		.amdhsa_float_round_mode_16_64 0
		.amdhsa_float_denorm_mode_32 3
		.amdhsa_float_denorm_mode_16_64 3
		.amdhsa_fp16_overflow 0
		.amdhsa_workgroup_processor_mode 1
		.amdhsa_memory_ordered 1
		.amdhsa_forward_progress 1
		.amdhsa_inst_pref_size 40
		.amdhsa_round_robin_scheduling 0
		.amdhsa_exception_fp_ieee_invalid_op 0
		.amdhsa_exception_fp_denorm_src 0
		.amdhsa_exception_fp_ieee_div_zero 0
		.amdhsa_exception_fp_ieee_overflow 0
		.amdhsa_exception_fp_ieee_underflow 0
		.amdhsa_exception_fp_ieee_inexact 0
		.amdhsa_exception_int_div_zero 0
	.end_amdhsa_kernel
	.section	.text._ZN2at6native12_GLOBAL__N_128conv_depthwise3d_cuda_kernelIN3c108BFloat16EfLi3ELi3ELi3ELi1ELi1ELi1EEEvN5torch10headeronly6detail27GenericPackedTensorAccessorINS7_14TensorAccessorINS3_8ArrayRefIlEEKT_Lm4ENS6_16DefaultPtrTraitsEiEENS_6detail16IndexBoundsCheckILm5EiEESD_Lm5ESE_iEENS8_INS9_ISB_SC_Lm4ESE_iEESI_SC_Lm5ESE_iEESJ_PSD_iiiiiiiii,"axG",@progbits,_ZN2at6native12_GLOBAL__N_128conv_depthwise3d_cuda_kernelIN3c108BFloat16EfLi3ELi3ELi3ELi1ELi1ELi1EEEvN5torch10headeronly6detail27GenericPackedTensorAccessorINS7_14TensorAccessorINS3_8ArrayRefIlEEKT_Lm4ENS6_16DefaultPtrTraitsEiEENS_6detail16IndexBoundsCheckILm5EiEESD_Lm5ESE_iEENS8_INS9_ISB_SC_Lm4ESE_iEESI_SC_Lm5ESE_iEESJ_PSD_iiiiiiiii,comdat
.Lfunc_end9:
	.size	_ZN2at6native12_GLOBAL__N_128conv_depthwise3d_cuda_kernelIN3c108BFloat16EfLi3ELi3ELi3ELi1ELi1ELi1EEEvN5torch10headeronly6detail27GenericPackedTensorAccessorINS7_14TensorAccessorINS3_8ArrayRefIlEEKT_Lm4ENS6_16DefaultPtrTraitsEiEENS_6detail16IndexBoundsCheckILm5EiEESD_Lm5ESE_iEENS8_INS9_ISB_SC_Lm4ESE_iEESI_SC_Lm5ESE_iEESJ_PSD_iiiiiiiii, .Lfunc_end9-_ZN2at6native12_GLOBAL__N_128conv_depthwise3d_cuda_kernelIN3c108BFloat16EfLi3ELi3ELi3ELi1ELi1ELi1EEEvN5torch10headeronly6detail27GenericPackedTensorAccessorINS7_14TensorAccessorINS3_8ArrayRefIlEEKT_Lm4ENS6_16DefaultPtrTraitsEiEENS_6detail16IndexBoundsCheckILm5EiEESD_Lm5ESE_iEENS8_INS9_ISB_SC_Lm4ESE_iEESI_SC_Lm5ESE_iEESJ_PSD_iiiiiiiii
                                        ; -- End function
	.set _ZN2at6native12_GLOBAL__N_128conv_depthwise3d_cuda_kernelIN3c108BFloat16EfLi3ELi3ELi3ELi1ELi1ELi1EEEvN5torch10headeronly6detail27GenericPackedTensorAccessorINS7_14TensorAccessorINS3_8ArrayRefIlEEKT_Lm4ENS6_16DefaultPtrTraitsEiEENS_6detail16IndexBoundsCheckILm5EiEESD_Lm5ESE_iEENS8_INS9_ISB_SC_Lm4ESE_iEESI_SC_Lm5ESE_iEESJ_PSD_iiiiiiiii.num_vgpr, 24
	.set _ZN2at6native12_GLOBAL__N_128conv_depthwise3d_cuda_kernelIN3c108BFloat16EfLi3ELi3ELi3ELi1ELi1ELi1EEEvN5torch10headeronly6detail27GenericPackedTensorAccessorINS7_14TensorAccessorINS3_8ArrayRefIlEEKT_Lm4ENS6_16DefaultPtrTraitsEiEENS_6detail16IndexBoundsCheckILm5EiEESD_Lm5ESE_iEENS8_INS9_ISB_SC_Lm4ESE_iEESI_SC_Lm5ESE_iEESJ_PSD_iiiiiiiii.num_agpr, 0
	.set _ZN2at6native12_GLOBAL__N_128conv_depthwise3d_cuda_kernelIN3c108BFloat16EfLi3ELi3ELi3ELi1ELi1ELi1EEEvN5torch10headeronly6detail27GenericPackedTensorAccessorINS7_14TensorAccessorINS3_8ArrayRefIlEEKT_Lm4ENS6_16DefaultPtrTraitsEiEENS_6detail16IndexBoundsCheckILm5EiEESD_Lm5ESE_iEENS8_INS9_ISB_SC_Lm4ESE_iEESI_SC_Lm5ESE_iEESJ_PSD_iiiiiiiii.numbered_sgpr, 76
	.set _ZN2at6native12_GLOBAL__N_128conv_depthwise3d_cuda_kernelIN3c108BFloat16EfLi3ELi3ELi3ELi1ELi1ELi1EEEvN5torch10headeronly6detail27GenericPackedTensorAccessorINS7_14TensorAccessorINS3_8ArrayRefIlEEKT_Lm4ENS6_16DefaultPtrTraitsEiEENS_6detail16IndexBoundsCheckILm5EiEESD_Lm5ESE_iEENS8_INS9_ISB_SC_Lm4ESE_iEESI_SC_Lm5ESE_iEESJ_PSD_iiiiiiiii.num_named_barrier, 0
	.set _ZN2at6native12_GLOBAL__N_128conv_depthwise3d_cuda_kernelIN3c108BFloat16EfLi3ELi3ELi3ELi1ELi1ELi1EEEvN5torch10headeronly6detail27GenericPackedTensorAccessorINS7_14TensorAccessorINS3_8ArrayRefIlEEKT_Lm4ENS6_16DefaultPtrTraitsEiEENS_6detail16IndexBoundsCheckILm5EiEESD_Lm5ESE_iEENS8_INS9_ISB_SC_Lm4ESE_iEESI_SC_Lm5ESE_iEESJ_PSD_iiiiiiiii.private_seg_size, 0
	.set _ZN2at6native12_GLOBAL__N_128conv_depthwise3d_cuda_kernelIN3c108BFloat16EfLi3ELi3ELi3ELi1ELi1ELi1EEEvN5torch10headeronly6detail27GenericPackedTensorAccessorINS7_14TensorAccessorINS3_8ArrayRefIlEEKT_Lm4ENS6_16DefaultPtrTraitsEiEENS_6detail16IndexBoundsCheckILm5EiEESD_Lm5ESE_iEENS8_INS9_ISB_SC_Lm4ESE_iEESI_SC_Lm5ESE_iEESJ_PSD_iiiiiiiii.uses_vcc, 1
	.set _ZN2at6native12_GLOBAL__N_128conv_depthwise3d_cuda_kernelIN3c108BFloat16EfLi3ELi3ELi3ELi1ELi1ELi1EEEvN5torch10headeronly6detail27GenericPackedTensorAccessorINS7_14TensorAccessorINS3_8ArrayRefIlEEKT_Lm4ENS6_16DefaultPtrTraitsEiEENS_6detail16IndexBoundsCheckILm5EiEESD_Lm5ESE_iEENS8_INS9_ISB_SC_Lm4ESE_iEESI_SC_Lm5ESE_iEESJ_PSD_iiiiiiiii.uses_flat_scratch, 0
	.set _ZN2at6native12_GLOBAL__N_128conv_depthwise3d_cuda_kernelIN3c108BFloat16EfLi3ELi3ELi3ELi1ELi1ELi1EEEvN5torch10headeronly6detail27GenericPackedTensorAccessorINS7_14TensorAccessorINS3_8ArrayRefIlEEKT_Lm4ENS6_16DefaultPtrTraitsEiEENS_6detail16IndexBoundsCheckILm5EiEESD_Lm5ESE_iEENS8_INS9_ISB_SC_Lm4ESE_iEESI_SC_Lm5ESE_iEESJ_PSD_iiiiiiiii.has_dyn_sized_stack, 0
	.set _ZN2at6native12_GLOBAL__N_128conv_depthwise3d_cuda_kernelIN3c108BFloat16EfLi3ELi3ELi3ELi1ELi1ELi1EEEvN5torch10headeronly6detail27GenericPackedTensorAccessorINS7_14TensorAccessorINS3_8ArrayRefIlEEKT_Lm4ENS6_16DefaultPtrTraitsEiEENS_6detail16IndexBoundsCheckILm5EiEESD_Lm5ESE_iEENS8_INS9_ISB_SC_Lm4ESE_iEESI_SC_Lm5ESE_iEESJ_PSD_iiiiiiiii.has_recursion, 0
	.set _ZN2at6native12_GLOBAL__N_128conv_depthwise3d_cuda_kernelIN3c108BFloat16EfLi3ELi3ELi3ELi1ELi1ELi1EEEvN5torch10headeronly6detail27GenericPackedTensorAccessorINS7_14TensorAccessorINS3_8ArrayRefIlEEKT_Lm4ENS6_16DefaultPtrTraitsEiEENS_6detail16IndexBoundsCheckILm5EiEESD_Lm5ESE_iEENS8_INS9_ISB_SC_Lm4ESE_iEESI_SC_Lm5ESE_iEESJ_PSD_iiiiiiiii.has_indirect_call, 0
	.section	.AMDGPU.csdata,"",@progbits
; Kernel info:
; codeLenInByte = 4996
; TotalNumSgprs: 78
; NumVgprs: 24
; ScratchSize: 0
; MemoryBound: 0
; FloatMode: 240
; IeeeMode: 1
; LDSByteSize: 0 bytes/workgroup (compile time only)
; SGPRBlocks: 0
; VGPRBlocks: 2
; NumSGPRsForWavesPerEU: 78
; NumVGPRsForWavesPerEU: 24
; Occupancy: 16
; WaveLimiterHint : 0
; COMPUTE_PGM_RSRC2:SCRATCH_EN: 0
; COMPUTE_PGM_RSRC2:USER_SGPR: 2
; COMPUTE_PGM_RSRC2:TRAP_HANDLER: 0
; COMPUTE_PGM_RSRC2:TGID_X_EN: 1
; COMPUTE_PGM_RSRC2:TGID_Y_EN: 0
; COMPUTE_PGM_RSRC2:TGID_Z_EN: 0
; COMPUTE_PGM_RSRC2:TIDIG_COMP_CNT: 0
	.section	.text._ZN2at6native12_GLOBAL__N_128conv_depthwise3d_cuda_kernelIN3c108BFloat16EfLin1ELin1ELin1ELi1ELi1ELi1EEEvN5torch10headeronly6detail27GenericPackedTensorAccessorINS7_14TensorAccessorINS3_8ArrayRefIlEEKT_Lm4ENS6_16DefaultPtrTraitsEiEENS_6detail16IndexBoundsCheckILm5EiEESD_Lm5ESE_iEENS8_INS9_ISB_SC_Lm4ESE_iEESI_SC_Lm5ESE_iEESJ_PSD_iiiiiiiii,"axG",@progbits,_ZN2at6native12_GLOBAL__N_128conv_depthwise3d_cuda_kernelIN3c108BFloat16EfLin1ELin1ELin1ELi1ELi1ELi1EEEvN5torch10headeronly6detail27GenericPackedTensorAccessorINS7_14TensorAccessorINS3_8ArrayRefIlEEKT_Lm4ENS6_16DefaultPtrTraitsEiEENS_6detail16IndexBoundsCheckILm5EiEESD_Lm5ESE_iEENS8_INS9_ISB_SC_Lm4ESE_iEESI_SC_Lm5ESE_iEESJ_PSD_iiiiiiiii,comdat
	.globl	_ZN2at6native12_GLOBAL__N_128conv_depthwise3d_cuda_kernelIN3c108BFloat16EfLin1ELin1ELin1ELi1ELi1ELi1EEEvN5torch10headeronly6detail27GenericPackedTensorAccessorINS7_14TensorAccessorINS3_8ArrayRefIlEEKT_Lm4ENS6_16DefaultPtrTraitsEiEENS_6detail16IndexBoundsCheckILm5EiEESD_Lm5ESE_iEENS8_INS9_ISB_SC_Lm4ESE_iEESI_SC_Lm5ESE_iEESJ_PSD_iiiiiiiii ; -- Begin function _ZN2at6native12_GLOBAL__N_128conv_depthwise3d_cuda_kernelIN3c108BFloat16EfLin1ELin1ELin1ELi1ELi1ELi1EEEvN5torch10headeronly6detail27GenericPackedTensorAccessorINS7_14TensorAccessorINS3_8ArrayRefIlEEKT_Lm4ENS6_16DefaultPtrTraitsEiEENS_6detail16IndexBoundsCheckILm5EiEESD_Lm5ESE_iEENS8_INS9_ISB_SC_Lm4ESE_iEESI_SC_Lm5ESE_iEESJ_PSD_iiiiiiiii
	.p2align	8
	.type	_ZN2at6native12_GLOBAL__N_128conv_depthwise3d_cuda_kernelIN3c108BFloat16EfLin1ELin1ELin1ELi1ELi1ELi1EEEvN5torch10headeronly6detail27GenericPackedTensorAccessorINS7_14TensorAccessorINS3_8ArrayRefIlEEKT_Lm4ENS6_16DefaultPtrTraitsEiEENS_6detail16IndexBoundsCheckILm5EiEESD_Lm5ESE_iEENS8_INS9_ISB_SC_Lm4ESE_iEESI_SC_Lm5ESE_iEESJ_PSD_iiiiiiiii,@function
_ZN2at6native12_GLOBAL__N_128conv_depthwise3d_cuda_kernelIN3c108BFloat16EfLin1ELin1ELin1ELi1ELi1ELi1EEEvN5torch10headeronly6detail27GenericPackedTensorAccessorINS7_14TensorAccessorINS3_8ArrayRefIlEEKT_Lm4ENS6_16DefaultPtrTraitsEiEENS_6detail16IndexBoundsCheckILm5EiEESD_Lm5ESE_iEENS8_INS9_ISB_SC_Lm4ESE_iEESI_SC_Lm5ESE_iEESJ_PSD_iiiiiiiii: ; @_ZN2at6native12_GLOBAL__N_128conv_depthwise3d_cuda_kernelIN3c108BFloat16EfLin1ELin1ELin1ELi1ELi1ELi1EEEvN5torch10headeronly6detail27GenericPackedTensorAccessorINS7_14TensorAccessorINS3_8ArrayRefIlEEKT_Lm4ENS6_16DefaultPtrTraitsEiEENS_6detail16IndexBoundsCheckILm5EiEESD_Lm5ESE_iEENS8_INS9_ISB_SC_Lm4ESE_iEESI_SC_Lm5ESE_iEESJ_PSD_iiiiiiiii
; %bb.0:
	s_clause 0x3
	s_load_b128 s[4:7], s[0:1], 0xc
	s_load_b32 s2, s[0:1], 0xcc
	s_load_b64 s[28:29], s[0:1], 0x48
	s_load_b128 s[8:11], s[0:1], 0x38
	v_mov_b32_e32 v1, 0
	s_wait_kmcnt 0x0
	s_abs_i32 s16, s4
	s_and_b32 s2, s2, 0xffff
	s_cvt_f32_u32 s3, s16
	v_mad_co_u64_u32 v[0:1], null, s2, ttmp9, v[0:1]
	s_mul_i32 s30, s29, s8
	s_delay_alu instid0(SALU_CYCLE_1) | instskip(SKIP_2) | instid1(TRANS32_DEP_1)
	v_rcp_iflag_f32_e32 v2, s3
	s_ashr_i32 s31, s30, 31
	s_mov_b32 s8, exec_lo
	v_readfirstlane_b32 s3, v2
	v_cmpx_gt_i64_e64 s[30:31], v[0:1]
	s_cbranch_execz .LBB10_17
; %bb.1:
	s_mul_f32 s3, s3, 0x4f7ffffe
	s_sub_co_i32 s8, 0, s16
	s_mov_b32 s35, 0
	s_abs_i32 s34, s9
	s_wait_alu 0xfffe
	s_cvt_u32_f32 s3, s3
	s_mov_b32 s13, s35
	s_ashr_i32 s4, s4, 31
	s_add_nc_u64 s[24:25], s[0:1], 0xc0
	s_wait_alu 0xfffe
	s_mul_i32 s8, s8, s3
	s_load_b64 s[36:37], s[0:1], 0x90
	s_mul_hi_u32 s8, s3, s8
	s_delay_alu instid0(SALU_CYCLE_1)
	s_add_co_i32 s12, s3, s8
	s_ashr_i32 s3, s9, 31
	s_mul_u64 s[18:19], s[34:35], s[12:13]
	s_load_b128 s[12:15], s[0:1], 0x70
	s_mul_i32 s8, s19, s16
	s_xor_b32 s4, s3, s4
	s_sub_co_i32 s8, s34, s8
	s_add_co_i32 s17, s19, 1
	s_sub_co_i32 s18, s8, s16
	s_cmp_ge_u32 s8, s16
	s_cselect_b32 s17, s17, s19
	s_cselect_b32 s8, s18, s8
	s_add_co_i32 s18, s17, 1
	s_cmp_ge_u32 s8, s16
	s_cselect_b32 s8, s18, s17
	s_clause 0x1
	s_load_b128 s[16:19], s[0:1], 0x98
	s_load_b64 s[38:39], s[0:1], 0xa8
	s_xor_b32 s8, s8, s4
	s_clause 0x1
	s_load_b64 s[40:41], s[0:1], 0x0
	s_load_b128 s[20:23], s[0:1], 0x1c
	s_sub_co_i32 s64, s8, s4
	s_load_b32 s55, s[24:25], 0x0
	s_cvt_f32_u32 s24, s34
	s_wait_kmcnt 0x0
	s_cmp_gt_i32 s12, 0
	s_clause 0x1
	s_load_b32 s53, s[0:1], 0x2c
	s_load_b64 s[42:43], s[0:1], 0x30
	s_cselect_b32 s4, -1, 0
	s_cmp_gt_i32 s13, 0
	v_rcp_iflag_f32_e32 v2, s24
	s_cselect_b32 s8, -1, 0
	s_cmp_gt_i32 s14, 0
	s_cselect_b32 s33, -1, 0
	s_sub_co_i32 s25, s6, s13
	s_sub_co_i32 s46, s7, s14
	s_wait_alu 0xfffe
	s_mul_i32 s48, s7, s25
	s_ashr_i32 s47, s46, 31
	s_ashr_i32 s49, s48, 31
	s_cmp_lg_u64 s[36:37], 0
	s_cselect_b32 s50, -1, 0
	s_abs_i32 s51, s28
	s_abs_i32 s52, s11
	s_cvt_f32_u32 s24, s51
	s_cvt_f32_u32 s25, s52
	s_abs_i32 s54, s10
	s_abs_i32 s58, s64
	s_wait_alu 0xfffe
	v_rcp_iflag_f32_e32 v3, s24
	v_rcp_iflag_f32_e32 v4, s25
	s_cvt_f32_u32 s56, s54
	s_clause 0x1
	s_load_b64 s[44:45], s[0:1], 0x60
	s_load_b128 s[24:27], s[0:1], 0x50
	v_readfirstlane_b32 s0, v2
	s_mul_i32 s55, s55, s2
	v_rcp_iflag_f32_e32 v2, s56
	s_cvt_f32_u32 s60, s58
	s_sub_co_i32 s59, 0, s51
	s_sub_co_i32 s62, 0, s52
	v_readfirstlane_b32 s1, v3
	v_readfirstlane_b32 s2, v4
	s_mul_f32 s0, s0, 0x4f7ffffe
	s_sub_co_i32 s65, 0, s34
	s_ashr_i32 s56, s28, 31
	s_mul_f32 s1, s1, 0x4f7ffffe
	s_mul_f32 s2, s2, 0x4f7ffffe
	v_readfirstlane_b32 s61, v2
	v_rcp_iflag_f32_e32 v2, s60
	s_wait_alu 0xfffe
	s_cvt_u32_f32 s1, s1
	s_cvt_u32_f32 s2, s2
	;; [unrolled: 1-line block ×3, first 2 shown]
	s_mul_f32 s61, s61, 0x4f7ffffe
	s_wait_alu 0xfffe
	s_mul_i32 s59, s59, s1
	s_mul_i32 s62, s62, s2
	s_mul_hi_u32 s59, s1, s59
	s_mul_hi_u32 s60, s2, s62
	s_add_co_i32 s59, s1, s59
	v_readfirstlane_b32 s62, v2
	s_cvt_u32_f32 s1, s61
	s_wait_alu 0xfffe
	s_add_co_i32 s60, s2, s60
	s_sub_co_i32 s2, 0, s54
	s_mul_i32 s65, s65, s0
	s_wait_alu 0xfffe
	s_mul_i32 s2, s2, s1
	s_mul_f32 s63, s62, 0x4f7ffffe
	s_wait_alu 0xfffe
	s_mul_hi_u32 s2, s1, s2
	s_ashr_i32 s57, s11, 31
	s_wait_alu 0xfffe
	s_add_co_i32 s62, s1, s2
	s_cvt_u32_f32 s1, s63
	s_mul_hi_u32 s2, s0, s65
	s_sub_co_i32 s65, 0, s58
	s_wait_alu 0xfffe
	s_add_co_i32 s63, s0, s2
	s_mul_i32 s65, s65, s1
	s_ashr_i32 s61, s10, 31
	s_mul_hi_u32 s0, s1, s65
	s_ashr_i32 s64, s64, 31
	s_wait_alu 0xfffe
	s_add_co_i32 s65, s1, s0
	s_lshl_b64 s[46:47], s[46:47], 1
	s_lshl_b64 s[48:49], s[48:49], 1
	s_branch .LBB10_3
.LBB10_2:                               ;   in Loop: Header=BB10_3 Depth=1
	v_mul_lo_u32 v3, v11, s29
	s_wait_kmcnt 0x0
	v_mul_lo_u32 v5, s24, v2
	v_bfe_u32 v6, v12, 16, 1
	v_mul_lo_u32 v7, s25, v10
	v_mul_lo_u32 v2, s26, v9
	;; [unrolled: 1-line block ×3, first 2 shown]
	s_delay_alu instid0(VALU_DEP_4) | instskip(SKIP_3) | instid1(VALU_DEP_4)
	v_add3_u32 v11, v12, v6, 0x7fff
	v_ashrrev_i32_e32 v4, 31, v3
	v_ashrrev_i32_e32 v6, 31, v5
	;; [unrolled: 1-line block ×3, first 2 shown]
	v_lshrrev_b32_e32 v11, 16, v11
	s_delay_alu instid0(VALU_DEP_4) | instskip(NEXT) | instid1(VALU_DEP_4)
	v_lshlrev_b64_e32 v[13:14], 1, v[3:4]
	v_lshlrev_b64_e32 v[4:5], 1, v[5:6]
	v_ashrrev_i32_e32 v3, 31, v2
	v_lshlrev_b64_e32 v[6:7], 1, v[7:8]
	v_ashrrev_i32_e32 v10, 31, v9
	v_add_co_u32 v13, vcc_lo, s42, v13
	s_wait_alu 0xfffd
	v_add_co_ci_u32_e64 v14, null, s43, v14, vcc_lo
	v_lshlrev_b64_e32 v[2:3], 1, v[2:3]
	s_delay_alu instid0(VALU_DEP_3) | instskip(SKIP_1) | instid1(VALU_DEP_3)
	v_add_co_u32 v4, vcc_lo, v13, v4
	s_wait_alu 0xfffd
	v_add_co_ci_u32_e64 v5, null, v14, v5, vcc_lo
	v_cmp_o_f32_e32 vcc_lo, v12, v12
	s_wait_alu 0xfffd
	v_cndmask_b32_e32 v8, 0x7fc0, v11, vcc_lo
	v_add_co_u32 v6, vcc_lo, v4, v6
	s_wait_alu 0xfffd
	v_add_co_ci_u32_e64 v7, null, v5, v7, vcc_lo
	v_add_co_u32 v0, vcc_lo, v0, s55
	v_lshlrev_b64_e32 v[4:5], 1, v[9:10]
	s_wait_alu 0xfffd
	v_add_co_ci_u32_e64 v1, null, 0, v1, vcc_lo
	v_add_co_u32 v2, vcc_lo, v6, v2
	s_wait_alu 0xfffd
	v_add_co_ci_u32_e64 v3, null, v7, v3, vcc_lo
	s_delay_alu instid0(VALU_DEP_3) | instskip(NEXT) | instid1(VALU_DEP_3)
	v_cmp_le_i64_e32 vcc_lo, s[30:31], v[0:1]
	v_add_co_u32 v2, s0, v2, v4
	s_wait_alu 0xf1ff
	s_delay_alu instid0(VALU_DEP_3)
	v_add_co_ci_u32_e64 v3, null, v3, v5, s0
	s_or_b32 s35, vcc_lo, s35
	global_store_b16 v[2:3], v8, off
	s_wait_alu 0xfffe
	s_and_not1_b32 exec_lo, exec_lo, s35
	s_cbranch_execz .LBB10_17
.LBB10_3:                               ; =>This Loop Header: Depth=1
                                        ;     Child Loop BB10_6 Depth 2
                                        ;       Child Loop BB10_9 Depth 3
                                        ;         Child Loop BB10_12 Depth 4
	v_sub_nc_u32_e32 v2, 0, v0
	s_delay_alu instid0(VALU_DEP_1) | instskip(NEXT) | instid1(VALU_DEP_1)
	v_max_i32_e32 v2, v0, v2
	v_mul_hi_u32 v3, v2, s59
	s_delay_alu instid0(VALU_DEP_1) | instskip(NEXT) | instid1(VALU_DEP_1)
	v_mul_lo_u32 v4, v3, s51
	v_sub_nc_u32_e32 v2, v2, v4
	v_add_nc_u32_e32 v4, 1, v3
	s_delay_alu instid0(VALU_DEP_2) | instskip(SKIP_2) | instid1(VALU_DEP_2)
	v_subrev_nc_u32_e32 v5, s51, v2
	v_cmp_le_u32_e32 vcc_lo, s51, v2
	s_wait_alu 0xfffd
	v_dual_cndmask_b32 v3, v3, v4 :: v_dual_cndmask_b32 v2, v2, v5
	v_ashrrev_i32_e32 v4, 31, v0
	s_delay_alu instid0(VALU_DEP_2) | instskip(NEXT) | instid1(VALU_DEP_3)
	v_add_nc_u32_e32 v5, 1, v3
	v_cmp_le_u32_e32 vcc_lo, s51, v2
	s_delay_alu instid0(VALU_DEP_3) | instskip(SKIP_1) | instid1(VALU_DEP_3)
	v_xor_b32_e32 v4, s56, v4
	s_wait_alu 0xfffd
	v_cndmask_b32_e32 v2, v3, v5, vcc_lo
	s_delay_alu instid0(VALU_DEP_1) | instskip(NEXT) | instid1(VALU_DEP_1)
	v_xor_b32_e32 v2, v2, v4
	v_sub_nc_u32_e32 v3, v2, v4
	s_delay_alu instid0(VALU_DEP_1) | instskip(NEXT) | instid1(VALU_DEP_1)
	v_sub_nc_u32_e32 v2, 0, v3
	v_max_i32_e32 v2, v3, v2
	s_delay_alu instid0(VALU_DEP_1) | instskip(NEXT) | instid1(VALU_DEP_1)
	v_mul_hi_u32 v4, v2, s60
	v_mul_lo_u32 v5, v4, s52
	s_delay_alu instid0(VALU_DEP_1) | instskip(SKIP_1) | instid1(VALU_DEP_2)
	v_sub_nc_u32_e32 v2, v2, v5
	v_add_nc_u32_e32 v5, 1, v4
	v_subrev_nc_u32_e32 v6, s52, v2
	v_cmp_le_u32_e32 vcc_lo, s52, v2
	s_wait_alu 0xfffd
	s_delay_alu instid0(VALU_DEP_3) | instskip(NEXT) | instid1(VALU_DEP_3)
	v_cndmask_b32_e32 v4, v4, v5, vcc_lo
	v_cndmask_b32_e32 v2, v2, v6, vcc_lo
	v_ashrrev_i32_e32 v5, 31, v3
	s_delay_alu instid0(VALU_DEP_3) | instskip(NEXT) | instid1(VALU_DEP_3)
	v_add_nc_u32_e32 v6, 1, v4
	v_cmp_le_u32_e32 vcc_lo, s52, v2
	s_delay_alu instid0(VALU_DEP_3) | instskip(SKIP_1) | instid1(VALU_DEP_3)
	v_xor_b32_e32 v5, s57, v5
	s_wait_alu 0xfffd
	v_cndmask_b32_e32 v2, v4, v6, vcc_lo
	s_delay_alu instid0(VALU_DEP_1) | instskip(NEXT) | instid1(VALU_DEP_1)
	v_xor_b32_e32 v2, v2, v5
	v_sub_nc_u32_e32 v4, v2, v5
	s_delay_alu instid0(VALU_DEP_1) | instskip(NEXT) | instid1(VALU_DEP_1)
	v_sub_nc_u32_e32 v2, 0, v4
	v_max_i32_e32 v2, v4, v2
	s_delay_alu instid0(VALU_DEP_1) | instskip(NEXT) | instid1(VALU_DEP_1)
	v_mul_hi_u32 v5, v2, s62
	v_mul_lo_u32 v6, v5, s54
	s_delay_alu instid0(VALU_DEP_1) | instskip(SKIP_1) | instid1(VALU_DEP_2)
	v_sub_nc_u32_e32 v2, v2, v6
	v_add_nc_u32_e32 v6, 1, v5
	v_subrev_nc_u32_e32 v7, s54, v2
	v_cmp_le_u32_e32 vcc_lo, s54, v2
	s_wait_alu 0xfffd
	s_delay_alu instid0(VALU_DEP_2) | instskip(SKIP_1) | instid1(VALU_DEP_2)
	v_dual_cndmask_b32 v5, v5, v6 :: v_dual_cndmask_b32 v2, v2, v7
	v_ashrrev_i32_e32 v6, 31, v4
	v_add_nc_u32_e32 v7, 1, v5
	s_delay_alu instid0(VALU_DEP_3) | instskip(NEXT) | instid1(VALU_DEP_3)
	v_cmp_le_u32_e32 vcc_lo, s54, v2
	v_xor_b32_e32 v6, s61, v6
	s_wait_alu 0xfffd
	s_delay_alu instid0(VALU_DEP_3) | instskip(NEXT) | instid1(VALU_DEP_1)
	v_cndmask_b32_e32 v2, v5, v7, vcc_lo
	v_xor_b32_e32 v2, v2, v6
	s_delay_alu instid0(VALU_DEP_1) | instskip(NEXT) | instid1(VALU_DEP_1)
	v_sub_nc_u32_e32 v2, v2, v6
	v_sub_nc_u32_e32 v5, 0, v2
	v_mul_lo_u32 v10, v2, s10
	s_delay_alu instid0(VALU_DEP_2) | instskip(NEXT) | instid1(VALU_DEP_2)
	v_max_i32_e32 v5, v2, v5
	v_sub_nc_u32_e32 v10, v4, v10
	s_delay_alu instid0(VALU_DEP_2) | instskip(NEXT) | instid1(VALU_DEP_1)
	v_mul_hi_u32 v6, v5, s63
	v_mul_lo_u32 v7, v6, s34
	s_delay_alu instid0(VALU_DEP_1) | instskip(SKIP_1) | instid1(VALU_DEP_2)
	v_sub_nc_u32_e32 v5, v5, v7
	v_add_nc_u32_e32 v7, 1, v6
	v_subrev_nc_u32_e32 v8, s34, v5
	v_cmp_le_u32_e32 vcc_lo, s34, v5
	s_wait_alu 0xfffd
	s_delay_alu instid0(VALU_DEP_2) | instskip(SKIP_1) | instid1(VALU_DEP_2)
	v_dual_cndmask_b32 v6, v6, v7 :: v_dual_cndmask_b32 v5, v5, v8
	v_ashrrev_i32_e32 v7, 31, v2
	v_add_nc_u32_e32 v8, 1, v6
	s_delay_alu instid0(VALU_DEP_3) | instskip(NEXT) | instid1(VALU_DEP_3)
	v_cmp_le_u32_e32 vcc_lo, s34, v5
	v_xor_b32_e32 v7, s3, v7
	s_wait_alu 0xfffd
	s_delay_alu instid0(VALU_DEP_3) | instskip(SKIP_2) | instid1(VALU_DEP_2)
	v_cndmask_b32_e32 v5, v6, v8, vcc_lo
	v_mul_lo_u32 v6, v3, s28
	s_and_not1_b32 vcc_lo, exec_lo, s4
	v_xor_b32_e32 v5, v5, v7
	s_delay_alu instid0(VALU_DEP_2) | instskip(NEXT) | instid1(VALU_DEP_2)
	v_sub_nc_u32_e32 v8, v0, v6
	v_sub_nc_u32_e32 v11, v5, v7
	v_mul_lo_u32 v7, v4, s11
	s_delay_alu instid0(VALU_DEP_2) | instskip(NEXT) | instid1(VALU_DEP_2)
	v_mul_lo_u32 v5, v11, s9
	v_sub_nc_u32_e32 v9, v3, v7
	s_delay_alu instid0(VALU_DEP_2) | instskip(NEXT) | instid1(VALU_DEP_1)
	v_sub_nc_u32_e32 v2, v2, v5
	v_ashrrev_i32_e32 v3, 31, v2
	s_wait_alu 0xfffe
	s_cbranch_vccnz .LBB10_14
; %bb.4:                                ;   in Loop: Header=BB10_3 Depth=1
	v_sub_nc_u32_e32 v4, 0, v2
	v_mul_lo_u32 v12, v10, s16
	v_mul_lo_u32 v14, v9, s17
	s_mov_b32 s66, 0
	s_delay_alu instid0(VALU_DEP_3) | instskip(NEXT) | instid1(VALU_DEP_3)
	v_max_i32_e32 v4, v2, v4
	v_subrev_nc_u32_e32 v13, s19, v12
	s_delay_alu instid0(VALU_DEP_2) | instskip(NEXT) | instid1(VALU_DEP_4)
	v_mul_hi_u32 v5, v4, s65
	v_subrev_nc_u32_e32 v14, s38, v14
	s_delay_alu instid0(VALU_DEP_3) | instskip(NEXT) | instid1(VALU_DEP_2)
	v_mul_lo_u32 v18, s22, v13
	v_mul_lo_u32 v20, s23, v14
	s_delay_alu instid0(VALU_DEP_4) | instskip(NEXT) | instid1(VALU_DEP_3)
	v_mul_lo_u32 v6, v5, s58
	v_ashrrev_i32_e32 v19, 31, v18
	s_delay_alu instid0(VALU_DEP_3) | instskip(NEXT) | instid1(VALU_DEP_3)
	v_ashrrev_i32_e32 v21, 31, v20
	v_sub_nc_u32_e32 v4, v4, v6
	v_add_nc_u32_e32 v6, 1, v5
	s_delay_alu instid0(VALU_DEP_2) | instskip(SKIP_2) | instid1(VALU_DEP_2)
	v_subrev_nc_u32_e32 v7, s58, v4
	v_cmp_le_u32_e32 vcc_lo, s58, v4
	s_wait_alu 0xfffd
	v_dual_cndmask_b32 v5, v5, v6 :: v_dual_cndmask_b32 v4, v4, v7
	v_xor_b32_e32 v7, s64, v3
	s_delay_alu instid0(VALU_DEP_2) | instskip(NEXT) | instid1(VALU_DEP_3)
	v_add_nc_u32_e32 v6, 1, v5
	v_cmp_le_u32_e32 vcc_lo, s58, v4
	s_wait_alu 0xfffd
	s_delay_alu instid0(VALU_DEP_2) | instskip(SKIP_1) | instid1(VALU_DEP_2)
	v_cndmask_b32_e32 v4, v5, v6, vcc_lo
	v_mul_lo_u32 v6, s15, v2
	v_xor_b32_e32 v5, v4, v7
	v_mul_lo_u32 v4, s20, v11
	s_delay_alu instid0(VALU_DEP_2) | instskip(SKIP_1) | instid1(VALU_DEP_2)
	v_sub_nc_u32_e32 v5, v5, v7
	v_mul_lo_u32 v7, v8, s18
	v_mul_lo_u32 v16, s21, v5
	s_delay_alu instid0(VALU_DEP_4) | instskip(NEXT) | instid1(VALU_DEP_3)
	v_ashrrev_i32_e32 v5, 31, v4
	v_subrev_nc_u32_e32 v15, s39, v7
	v_ashrrev_i32_e32 v7, 31, v6
	s_delay_alu instid0(VALU_DEP_3) | instskip(SKIP_4) | instid1(VALU_DEP_4)
	v_lshlrev_b64_e32 v[4:5], 1, v[4:5]
	v_ashrrev_i32_e32 v17, 31, v16
	s_wait_kmcnt 0x0
	v_mul_lo_u32 v22, s53, v15
	v_lshlrev_b64_e32 v[6:7], 1, v[6:7]
	v_add_co_u32 v12, vcc_lo, s40, v4
	v_lshlrev_b64_e32 v[16:17], 1, v[16:17]
	s_wait_alu 0xfffd
	v_add_co_ci_u32_e64 v24, null, s41, v5, vcc_lo
	v_lshlrev_b64_e32 v[4:5], 1, v[18:19]
	v_ashrrev_i32_e32 v23, 31, v22
	s_delay_alu instid0(VALU_DEP_4) | instskip(SKIP_3) | instid1(VALU_DEP_3)
	v_add_co_u32 v12, vcc_lo, v12, v16
	s_wait_alu 0xfffd
	v_add_co_ci_u32_e64 v18, null, v24, v17, vcc_lo
	v_lshlrev_b64_e32 v[16:17], 1, v[20:21]
	v_add_co_u32 v4, vcc_lo, v12, v4
	s_wait_alu 0xfffd
	s_delay_alu instid0(VALU_DEP_3) | instskip(SKIP_1) | instid1(VALU_DEP_3)
	v_add_co_ci_u32_e64 v5, null, v18, v5, vcc_lo
	v_lshlrev_b64_e32 v[18:19], 1, v[22:23]
	v_add_co_u32 v12, vcc_lo, v4, v16
	s_wait_alu 0xfffd
	s_delay_alu instid0(VALU_DEP_3)
	v_add_co_ci_u32_e64 v16, null, v5, v17, vcc_lo
	v_add_co_u32 v4, vcc_lo, s44, v6
	s_wait_alu 0xfffd
	v_add_co_ci_u32_e64 v5, null, s45, v7, vcc_lo
	v_add_co_u32 v6, vcc_lo, v12, v18
	s_wait_alu 0xfffd
	v_add_co_ci_u32_e64 v7, null, v16, v19, vcc_lo
	v_mov_b32_e32 v12, 0
	s_branch .LBB10_6
.LBB10_5:                               ;   in Loop: Header=BB10_6 Depth=2
	v_add_co_u32 v6, vcc_lo, v6, s48
	s_wait_alu 0xfffd
	v_add_co_ci_u32_e64 v7, null, s49, v7, vcc_lo
	s_add_co_i32 s66, s66, 1
	s_wait_alu 0xfffe
	s_cmp_eq_u32 s66, s12
	s_cbranch_scc1 .LBB10_15
.LBB10_6:                               ;   Parent Loop BB10_3 Depth=1
                                        ; =>  This Loop Header: Depth=2
                                        ;       Child Loop BB10_9 Depth 3
                                        ;         Child Loop BB10_12 Depth 4
	s_and_not1_b32 vcc_lo, exec_lo, s8
	s_wait_alu 0xfffe
	s_cbranch_vccnz .LBB10_5
; %bb.7:                                ;   in Loop: Header=BB10_6 Depth=2
	v_add_nc_u32_e32 v16, s66, v13
	s_mov_b32 s67, 0
	s_delay_alu instid0(VALU_DEP_1)
	v_cmp_lt_i32_e64 s0, -1, v16
	v_cmp_gt_i32_e64 s1, s5, v16
	s_branch .LBB10_9
.LBB10_8:                               ;   in Loop: Header=BB10_9 Depth=3
	v_add_co_u32 v6, vcc_lo, v6, s46
	s_wait_alu 0xfffd
	v_add_co_ci_u32_e64 v7, null, s47, v7, vcc_lo
	s_add_co_i32 s67, s67, 1
	s_wait_alu 0xfffe
	s_cmp_eq_u32 s67, s13
	s_cbranch_scc1 .LBB10_5
.LBB10_9:                               ;   Parent Loop BB10_3 Depth=1
                                        ;     Parent Loop BB10_6 Depth=2
                                        ; =>    This Loop Header: Depth=3
                                        ;         Child Loop BB10_12 Depth 4
	s_and_not1_b32 vcc_lo, exec_lo, s33
	s_wait_alu 0xfffe
	s_cbranch_vccnz .LBB10_8
; %bb.10:                               ;   in Loop: Header=BB10_9 Depth=3
	v_dual_mov_b32 v16, v15 :: v_dual_add_nc_u32 v17, s67, v14
	s_mov_b32 s69, s14
	s_delay_alu instid0(VALU_DEP_1)
	v_cmp_lt_i32_e64 s2, -1, v17
	v_cmp_gt_i32_e32 vcc_lo, s6, v17
	s_and_b32 s68, s0, s2
	s_branch .LBB10_12
.LBB10_11:                              ;   in Loop: Header=BB10_12 Depth=4
	s_wait_alu 0xfffe
	s_or_b32 exec_lo, exec_lo, s2
	v_add_co_u32 v4, s2, v4, 2
	s_wait_alu 0xf1ff
	v_add_co_ci_u32_e64 v5, null, 0, v5, s2
	v_add_co_u32 v6, s2, v6, 2
	s_wait_alu 0xf1ff
	v_add_co_ci_u32_e64 v7, null, 0, v7, s2
	v_add_nc_u32_e32 v16, 1, v16
	s_add_co_i32 s69, s69, -1
	s_delay_alu instid0(SALU_CYCLE_1)
	s_cmp_eq_u32 s69, 0
	s_cbranch_scc1 .LBB10_8
.LBB10_12:                              ;   Parent Loop BB10_3 Depth=1
                                        ;     Parent Loop BB10_6 Depth=2
                                        ;       Parent Loop BB10_9 Depth=3
                                        ; =>      This Inner Loop Header: Depth=4
	s_delay_alu instid0(VALU_DEP_1) | instskip(SKIP_3) | instid1(SALU_CYCLE_1)
	v_cmp_lt_i32_e64 s2, -1, v16
	s_and_b32 s70, s68, s2
	v_cmp_gt_i32_e64 s2, s7, v16
	s_and_b32 s70, s70, s1
	s_and_b32 s70, s70, vcc_lo
	s_delay_alu instid0(SALU_CYCLE_1) | instskip(NEXT) | instid1(SALU_CYCLE_1)
	s_and_b32 s70, s70, s2
	s_and_saveexec_b32 s2, s70
	s_cbranch_execz .LBB10_11
; %bb.13:                               ;   in Loop: Header=BB10_12 Depth=4
	global_load_u16 v17, v[6:7], off
	global_load_u16 v18, v[4:5], off
	s_wait_loadcnt 0x1
	v_lshlrev_b32_e32 v17, 16, v17
	s_wait_loadcnt 0x0
	v_lshlrev_b32_e32 v18, 16, v18
	s_delay_alu instid0(VALU_DEP_1)
	v_fmac_f32_e32 v12, v18, v17
	s_branch .LBB10_11
.LBB10_14:                              ;   in Loop: Header=BB10_3 Depth=1
	v_mov_b32_e32 v12, 0
.LBB10_15:                              ;   in Loop: Header=BB10_3 Depth=1
	s_and_b32 vcc_lo, exec_lo, s50
	s_wait_alu 0xfffe
	s_cbranch_vccz .LBB10_2
; %bb.16:                               ;   in Loop: Header=BB10_3 Depth=1
	v_lshlrev_b64_e32 v[3:4], 1, v[2:3]
	s_delay_alu instid0(VALU_DEP_1) | instskip(SKIP_1) | instid1(VALU_DEP_2)
	v_add_co_u32 v3, vcc_lo, s36, v3
	s_wait_alu 0xfffd
	v_add_co_ci_u32_e64 v4, null, s37, v4, vcc_lo
	global_load_u16 v3, v[3:4], off
	s_wait_loadcnt 0x0
	v_lshlrev_b32_e32 v3, 16, v3
	s_delay_alu instid0(VALU_DEP_1)
	v_add_f32_e32 v12, v12, v3
	s_branch .LBB10_2
.LBB10_17:
	s_endpgm
	.section	.rodata,"a",@progbits
	.p2align	6, 0x0
	.amdhsa_kernel _ZN2at6native12_GLOBAL__N_128conv_depthwise3d_cuda_kernelIN3c108BFloat16EfLin1ELin1ELin1ELi1ELi1ELi1EEEvN5torch10headeronly6detail27GenericPackedTensorAccessorINS7_14TensorAccessorINS3_8ArrayRefIlEEKT_Lm4ENS6_16DefaultPtrTraitsEiEENS_6detail16IndexBoundsCheckILm5EiEESD_Lm5ESE_iEENS8_INS9_ISB_SC_Lm4ESE_iEESI_SC_Lm5ESE_iEESJ_PSD_iiiiiiiii
		.amdhsa_group_segment_fixed_size 0
		.amdhsa_private_segment_fixed_size 0
		.amdhsa_kernarg_size 448
		.amdhsa_user_sgpr_count 2
		.amdhsa_user_sgpr_dispatch_ptr 0
		.amdhsa_user_sgpr_queue_ptr 0
		.amdhsa_user_sgpr_kernarg_segment_ptr 1
		.amdhsa_user_sgpr_dispatch_id 0
		.amdhsa_user_sgpr_private_segment_size 0
		.amdhsa_wavefront_size32 1
		.amdhsa_uses_dynamic_stack 0
		.amdhsa_enable_private_segment 0
		.amdhsa_system_sgpr_workgroup_id_x 1
		.amdhsa_system_sgpr_workgroup_id_y 0
		.amdhsa_system_sgpr_workgroup_id_z 0
		.amdhsa_system_sgpr_workgroup_info 0
		.amdhsa_system_vgpr_workitem_id 0
		.amdhsa_next_free_vgpr 25
		.amdhsa_next_free_sgpr 71
		.amdhsa_reserve_vcc 1
		.amdhsa_float_round_mode_32 0
		.amdhsa_float_round_mode_16_64 0
		.amdhsa_float_denorm_mode_32 3
		.amdhsa_float_denorm_mode_16_64 3
		.amdhsa_fp16_overflow 0
		.amdhsa_workgroup_processor_mode 1
		.amdhsa_memory_ordered 1
		.amdhsa_forward_progress 1
		.amdhsa_inst_pref_size 18
		.amdhsa_round_robin_scheduling 0
		.amdhsa_exception_fp_ieee_invalid_op 0
		.amdhsa_exception_fp_denorm_src 0
		.amdhsa_exception_fp_ieee_div_zero 0
		.amdhsa_exception_fp_ieee_overflow 0
		.amdhsa_exception_fp_ieee_underflow 0
		.amdhsa_exception_fp_ieee_inexact 0
		.amdhsa_exception_int_div_zero 0
	.end_amdhsa_kernel
	.section	.text._ZN2at6native12_GLOBAL__N_128conv_depthwise3d_cuda_kernelIN3c108BFloat16EfLin1ELin1ELin1ELi1ELi1ELi1EEEvN5torch10headeronly6detail27GenericPackedTensorAccessorINS7_14TensorAccessorINS3_8ArrayRefIlEEKT_Lm4ENS6_16DefaultPtrTraitsEiEENS_6detail16IndexBoundsCheckILm5EiEESD_Lm5ESE_iEENS8_INS9_ISB_SC_Lm4ESE_iEESI_SC_Lm5ESE_iEESJ_PSD_iiiiiiiii,"axG",@progbits,_ZN2at6native12_GLOBAL__N_128conv_depthwise3d_cuda_kernelIN3c108BFloat16EfLin1ELin1ELin1ELi1ELi1ELi1EEEvN5torch10headeronly6detail27GenericPackedTensorAccessorINS7_14TensorAccessorINS3_8ArrayRefIlEEKT_Lm4ENS6_16DefaultPtrTraitsEiEENS_6detail16IndexBoundsCheckILm5EiEESD_Lm5ESE_iEENS8_INS9_ISB_SC_Lm4ESE_iEESI_SC_Lm5ESE_iEESJ_PSD_iiiiiiiii,comdat
.Lfunc_end10:
	.size	_ZN2at6native12_GLOBAL__N_128conv_depthwise3d_cuda_kernelIN3c108BFloat16EfLin1ELin1ELin1ELi1ELi1ELi1EEEvN5torch10headeronly6detail27GenericPackedTensorAccessorINS7_14TensorAccessorINS3_8ArrayRefIlEEKT_Lm4ENS6_16DefaultPtrTraitsEiEENS_6detail16IndexBoundsCheckILm5EiEESD_Lm5ESE_iEENS8_INS9_ISB_SC_Lm4ESE_iEESI_SC_Lm5ESE_iEESJ_PSD_iiiiiiiii, .Lfunc_end10-_ZN2at6native12_GLOBAL__N_128conv_depthwise3d_cuda_kernelIN3c108BFloat16EfLin1ELin1ELin1ELi1ELi1ELi1EEEvN5torch10headeronly6detail27GenericPackedTensorAccessorINS7_14TensorAccessorINS3_8ArrayRefIlEEKT_Lm4ENS6_16DefaultPtrTraitsEiEENS_6detail16IndexBoundsCheckILm5EiEESD_Lm5ESE_iEENS8_INS9_ISB_SC_Lm4ESE_iEESI_SC_Lm5ESE_iEESJ_PSD_iiiiiiiii
                                        ; -- End function
	.set _ZN2at6native12_GLOBAL__N_128conv_depthwise3d_cuda_kernelIN3c108BFloat16EfLin1ELin1ELin1ELi1ELi1ELi1EEEvN5torch10headeronly6detail27GenericPackedTensorAccessorINS7_14TensorAccessorINS3_8ArrayRefIlEEKT_Lm4ENS6_16DefaultPtrTraitsEiEENS_6detail16IndexBoundsCheckILm5EiEESD_Lm5ESE_iEENS8_INS9_ISB_SC_Lm4ESE_iEESI_SC_Lm5ESE_iEESJ_PSD_iiiiiiiii.num_vgpr, 25
	.set _ZN2at6native12_GLOBAL__N_128conv_depthwise3d_cuda_kernelIN3c108BFloat16EfLin1ELin1ELin1ELi1ELi1ELi1EEEvN5torch10headeronly6detail27GenericPackedTensorAccessorINS7_14TensorAccessorINS3_8ArrayRefIlEEKT_Lm4ENS6_16DefaultPtrTraitsEiEENS_6detail16IndexBoundsCheckILm5EiEESD_Lm5ESE_iEENS8_INS9_ISB_SC_Lm4ESE_iEESI_SC_Lm5ESE_iEESJ_PSD_iiiiiiiii.num_agpr, 0
	.set _ZN2at6native12_GLOBAL__N_128conv_depthwise3d_cuda_kernelIN3c108BFloat16EfLin1ELin1ELin1ELi1ELi1ELi1EEEvN5torch10headeronly6detail27GenericPackedTensorAccessorINS7_14TensorAccessorINS3_8ArrayRefIlEEKT_Lm4ENS6_16DefaultPtrTraitsEiEENS_6detail16IndexBoundsCheckILm5EiEESD_Lm5ESE_iEENS8_INS9_ISB_SC_Lm4ESE_iEESI_SC_Lm5ESE_iEESJ_PSD_iiiiiiiii.numbered_sgpr, 71
	.set _ZN2at6native12_GLOBAL__N_128conv_depthwise3d_cuda_kernelIN3c108BFloat16EfLin1ELin1ELin1ELi1ELi1ELi1EEEvN5torch10headeronly6detail27GenericPackedTensorAccessorINS7_14TensorAccessorINS3_8ArrayRefIlEEKT_Lm4ENS6_16DefaultPtrTraitsEiEENS_6detail16IndexBoundsCheckILm5EiEESD_Lm5ESE_iEENS8_INS9_ISB_SC_Lm4ESE_iEESI_SC_Lm5ESE_iEESJ_PSD_iiiiiiiii.num_named_barrier, 0
	.set _ZN2at6native12_GLOBAL__N_128conv_depthwise3d_cuda_kernelIN3c108BFloat16EfLin1ELin1ELin1ELi1ELi1ELi1EEEvN5torch10headeronly6detail27GenericPackedTensorAccessorINS7_14TensorAccessorINS3_8ArrayRefIlEEKT_Lm4ENS6_16DefaultPtrTraitsEiEENS_6detail16IndexBoundsCheckILm5EiEESD_Lm5ESE_iEENS8_INS9_ISB_SC_Lm4ESE_iEESI_SC_Lm5ESE_iEESJ_PSD_iiiiiiiii.private_seg_size, 0
	.set _ZN2at6native12_GLOBAL__N_128conv_depthwise3d_cuda_kernelIN3c108BFloat16EfLin1ELin1ELin1ELi1ELi1ELi1EEEvN5torch10headeronly6detail27GenericPackedTensorAccessorINS7_14TensorAccessorINS3_8ArrayRefIlEEKT_Lm4ENS6_16DefaultPtrTraitsEiEENS_6detail16IndexBoundsCheckILm5EiEESD_Lm5ESE_iEENS8_INS9_ISB_SC_Lm4ESE_iEESI_SC_Lm5ESE_iEESJ_PSD_iiiiiiiii.uses_vcc, 1
	.set _ZN2at6native12_GLOBAL__N_128conv_depthwise3d_cuda_kernelIN3c108BFloat16EfLin1ELin1ELin1ELi1ELi1ELi1EEEvN5torch10headeronly6detail27GenericPackedTensorAccessorINS7_14TensorAccessorINS3_8ArrayRefIlEEKT_Lm4ENS6_16DefaultPtrTraitsEiEENS_6detail16IndexBoundsCheckILm5EiEESD_Lm5ESE_iEENS8_INS9_ISB_SC_Lm4ESE_iEESI_SC_Lm5ESE_iEESJ_PSD_iiiiiiiii.uses_flat_scratch, 0
	.set _ZN2at6native12_GLOBAL__N_128conv_depthwise3d_cuda_kernelIN3c108BFloat16EfLin1ELin1ELin1ELi1ELi1ELi1EEEvN5torch10headeronly6detail27GenericPackedTensorAccessorINS7_14TensorAccessorINS3_8ArrayRefIlEEKT_Lm4ENS6_16DefaultPtrTraitsEiEENS_6detail16IndexBoundsCheckILm5EiEESD_Lm5ESE_iEENS8_INS9_ISB_SC_Lm4ESE_iEESI_SC_Lm5ESE_iEESJ_PSD_iiiiiiiii.has_dyn_sized_stack, 0
	.set _ZN2at6native12_GLOBAL__N_128conv_depthwise3d_cuda_kernelIN3c108BFloat16EfLin1ELin1ELin1ELi1ELi1ELi1EEEvN5torch10headeronly6detail27GenericPackedTensorAccessorINS7_14TensorAccessorINS3_8ArrayRefIlEEKT_Lm4ENS6_16DefaultPtrTraitsEiEENS_6detail16IndexBoundsCheckILm5EiEESD_Lm5ESE_iEENS8_INS9_ISB_SC_Lm4ESE_iEESI_SC_Lm5ESE_iEESJ_PSD_iiiiiiiii.has_recursion, 0
	.set _ZN2at6native12_GLOBAL__N_128conv_depthwise3d_cuda_kernelIN3c108BFloat16EfLin1ELin1ELin1ELi1ELi1ELi1EEEvN5torch10headeronly6detail27GenericPackedTensorAccessorINS7_14TensorAccessorINS3_8ArrayRefIlEEKT_Lm4ENS6_16DefaultPtrTraitsEiEENS_6detail16IndexBoundsCheckILm5EiEESD_Lm5ESE_iEENS8_INS9_ISB_SC_Lm4ESE_iEESI_SC_Lm5ESE_iEESJ_PSD_iiiiiiiii.has_indirect_call, 0
	.section	.AMDGPU.csdata,"",@progbits
; Kernel info:
; codeLenInByte = 2304
; TotalNumSgprs: 73
; NumVgprs: 25
; ScratchSize: 0
; MemoryBound: 0
; FloatMode: 240
; IeeeMode: 1
; LDSByteSize: 0 bytes/workgroup (compile time only)
; SGPRBlocks: 0
; VGPRBlocks: 3
; NumSGPRsForWavesPerEU: 73
; NumVGPRsForWavesPerEU: 25
; Occupancy: 16
; WaveLimiterHint : 0
; COMPUTE_PGM_RSRC2:SCRATCH_EN: 0
; COMPUTE_PGM_RSRC2:USER_SGPR: 2
; COMPUTE_PGM_RSRC2:TRAP_HANDLER: 0
; COMPUTE_PGM_RSRC2:TGID_X_EN: 1
; COMPUTE_PGM_RSRC2:TGID_Y_EN: 0
; COMPUTE_PGM_RSRC2:TGID_Z_EN: 0
; COMPUTE_PGM_RSRC2:TIDIG_COMP_CNT: 0
	.section	.text._ZN2at6native12_GLOBAL__N_128conv_depthwise3d_cuda_kernelIN3c108BFloat16EfLin1ELin1ELin1ELin1ELin1ELin1EEEvN5torch10headeronly6detail27GenericPackedTensorAccessorINS7_14TensorAccessorINS3_8ArrayRefIlEEKT_Lm4ENS6_16DefaultPtrTraitsEiEENS_6detail16IndexBoundsCheckILm5EiEESD_Lm5ESE_iEENS8_INS9_ISB_SC_Lm4ESE_iEESI_SC_Lm5ESE_iEESJ_PSD_iiiiiiiii,"axG",@progbits,_ZN2at6native12_GLOBAL__N_128conv_depthwise3d_cuda_kernelIN3c108BFloat16EfLin1ELin1ELin1ELin1ELin1ELin1EEEvN5torch10headeronly6detail27GenericPackedTensorAccessorINS7_14TensorAccessorINS3_8ArrayRefIlEEKT_Lm4ENS6_16DefaultPtrTraitsEiEENS_6detail16IndexBoundsCheckILm5EiEESD_Lm5ESE_iEENS8_INS9_ISB_SC_Lm4ESE_iEESI_SC_Lm5ESE_iEESJ_PSD_iiiiiiiii,comdat
	.globl	_ZN2at6native12_GLOBAL__N_128conv_depthwise3d_cuda_kernelIN3c108BFloat16EfLin1ELin1ELin1ELin1ELin1ELin1EEEvN5torch10headeronly6detail27GenericPackedTensorAccessorINS7_14TensorAccessorINS3_8ArrayRefIlEEKT_Lm4ENS6_16DefaultPtrTraitsEiEENS_6detail16IndexBoundsCheckILm5EiEESD_Lm5ESE_iEENS8_INS9_ISB_SC_Lm4ESE_iEESI_SC_Lm5ESE_iEESJ_PSD_iiiiiiiii ; -- Begin function _ZN2at6native12_GLOBAL__N_128conv_depthwise3d_cuda_kernelIN3c108BFloat16EfLin1ELin1ELin1ELin1ELin1ELin1EEEvN5torch10headeronly6detail27GenericPackedTensorAccessorINS7_14TensorAccessorINS3_8ArrayRefIlEEKT_Lm4ENS6_16DefaultPtrTraitsEiEENS_6detail16IndexBoundsCheckILm5EiEESD_Lm5ESE_iEENS8_INS9_ISB_SC_Lm4ESE_iEESI_SC_Lm5ESE_iEESJ_PSD_iiiiiiiii
	.p2align	8
	.type	_ZN2at6native12_GLOBAL__N_128conv_depthwise3d_cuda_kernelIN3c108BFloat16EfLin1ELin1ELin1ELin1ELin1ELin1EEEvN5torch10headeronly6detail27GenericPackedTensorAccessorINS7_14TensorAccessorINS3_8ArrayRefIlEEKT_Lm4ENS6_16DefaultPtrTraitsEiEENS_6detail16IndexBoundsCheckILm5EiEESD_Lm5ESE_iEENS8_INS9_ISB_SC_Lm4ESE_iEESI_SC_Lm5ESE_iEESJ_PSD_iiiiiiiii,@function
_ZN2at6native12_GLOBAL__N_128conv_depthwise3d_cuda_kernelIN3c108BFloat16EfLin1ELin1ELin1ELin1ELin1ELin1EEEvN5torch10headeronly6detail27GenericPackedTensorAccessorINS7_14TensorAccessorINS3_8ArrayRefIlEEKT_Lm4ENS6_16DefaultPtrTraitsEiEENS_6detail16IndexBoundsCheckILm5EiEESD_Lm5ESE_iEENS8_INS9_ISB_SC_Lm4ESE_iEESI_SC_Lm5ESE_iEESJ_PSD_iiiiiiiii: ; @_ZN2at6native12_GLOBAL__N_128conv_depthwise3d_cuda_kernelIN3c108BFloat16EfLin1ELin1ELin1ELin1ELin1ELin1EEEvN5torch10headeronly6detail27GenericPackedTensorAccessorINS7_14TensorAccessorINS3_8ArrayRefIlEEKT_Lm4ENS6_16DefaultPtrTraitsEiEENS_6detail16IndexBoundsCheckILm5EiEESD_Lm5ESE_iEENS8_INS9_ISB_SC_Lm4ESE_iEESI_SC_Lm5ESE_iEESJ_PSD_iiiiiiiii
; %bb.0:
	s_clause 0x3
	s_load_b128 s[12:15], s[0:1], 0xc
	s_load_b32 s3, s[0:1], 0xcc
	s_load_b64 s[34:35], s[0:1], 0x48
	s_load_b128 s[16:19], s[0:1], 0x38
	v_mov_b32_e32 v1, 0
	s_wait_kmcnt 0x0
	s_abs_i32 s2, s12
	s_and_b32 s50, s3, 0xffff
	s_cvt_f32_u32 s4, s2
	v_mad_co_u64_u32 v[0:1], null, s50, ttmp9, v[0:1]
	s_mul_i32 s36, s35, s16
	s_delay_alu instid0(SALU_CYCLE_1) | instskip(SKIP_2) | instid1(TRANS32_DEP_1)
	v_rcp_iflag_f32_e32 v2, s4
	s_ashr_i32 s37, s36, 31
	s_mov_b32 s4, exec_lo
	v_readfirstlane_b32 s3, v2
	v_cmpx_gt_i64_e64 s[36:37], v[0:1]
	s_cbranch_execz .LBB11_17
; %bb.1:
	s_mul_f32 s3, s3, 0x4f7ffffe
	s_sub_co_i32 s4, 0, s2
	s_mov_b32 s39, 0
	s_abs_i32 s38, s17
	s_cvt_u32_f32 s3, s3
	s_mov_b32 s21, s39
	s_ashr_i32 s16, s17, 31
	s_load_b64 s[42:43], s[0:1], 0x90
	s_mul_i32 s4, s4, s3
	s_cvt_f32_u32 s53, s38
	s_wait_alu 0xfffe
	s_mul_hi_u32 s4, s3, s4
	s_wait_alu 0xfffe
	s_add_co_i32 s20, s3, s4
	s_ashr_i32 s3, s12, 31
	s_mul_u64 s[24:25], s[38:39], s[20:21]
	s_clause 0x1
	s_load_b128 s[20:23], s[0:1], 0x70
	s_load_b32 s40, s[0:1], 0xb8
	s_mul_i32 s12, s25, s2
	s_load_b256 s[4:11], s[0:1], 0x98
	s_xor_b32 s24, s16, s3
	s_sub_co_i32 s3, s38, s12
	s_add_co_i32 s12, s25, 1
	s_sub_co_i32 s26, s3, s2
	s_cmp_ge_u32 s3, s2
	v_rcp_iflag_f32_e32 v4, s53
	s_cselect_b32 s12, s12, s25
	s_cselect_b32 s3, s26, s3
	s_add_co_i32 s25, s12, 1
	s_cmp_ge_u32 s3, s2
	s_add_nc_u64 s[2:3], s[0:1], 0xc0
	s_cselect_b32 s12, s25, s12
	s_load_b32 s51, s[2:3], 0x0
	s_xor_b32 s2, s12, s24
	s_delay_alu instid0(SALU_CYCLE_1)
	s_sub_co_i32 s52, s2, s24
	s_wait_kmcnt 0x0
	s_cmp_gt_i32 s20, 0
	s_mul_i32 s2, s22, s40
	s_cselect_b32 s12, -1, 0
	s_cmp_gt_i32 s21, 0
	s_mul_i32 s24, s14, s10
	s_cselect_b32 s33, -1, 0
	s_cmp_gt_i32 s22, 0
	s_mul_i32 s25, s21, s11
	s_mul_i32 s3, s15, s11
	s_cselect_b32 s56, -1, 0
	s_sub_co_i32 s24, s24, s25
	s_sub_co_i32 s2, s3, s2
	s_mul_i32 s54, s24, s15
	s_ashr_i32 s41, s40, 31
	s_ashr_i32 s3, s2, 31
	s_ashr_i32 s55, s54, 31
	s_cmp_lg_u64 s[42:43], 0
	s_clause 0x1
	s_load_b64 s[44:45], s[0:1], 0x0
	s_load_b128 s[24:27], s[0:1], 0x1c
	s_cselect_b32 s57, -1, 0
	s_abs_i32 s58, s34
	s_abs_i32 s59, s19
	s_cvt_f32_u32 s28, s58
	s_cvt_f32_u32 s29, s59
	s_abs_i32 s61, s18
	s_clause 0x1
	s_load_b32 s60, s[0:1], 0x2c
	s_load_b64 s[46:47], s[0:1], 0x30
	v_rcp_iflag_f32_e32 v2, s28
	v_rcp_iflag_f32_e32 v3, s29
	s_clause 0x1
	s_load_b64 s[48:49], s[0:1], 0x60
	s_load_b128 s[28:31], s[0:1], 0x50
	s_cvt_f32_u32 s0, s61
	s_abs_i32 s64, s52
	s_mul_i32 s62, s51, s50
	s_cvt_f32_u32 s53, s64
	s_sub_co_i32 s50, 0, s58
	s_sub_co_i32 s51, 0, s59
	s_ashr_i32 s63, s34, 31
	v_readfirstlane_b32 s1, v2
	s_wait_alu 0xfffe
	v_rcp_iflag_f32_e32 v2, s0
	v_readfirstlane_b32 s0, v3
	s_ashr_i32 s68, s18, 31
	s_ashr_i32 s71, s52, 31
	s_mul_f32 s1, s1, 0x4f7ffffe
	s_lshl_b64 s[54:55], s[54:55], 1
	s_mul_f32 s0, s0, 0x4f7ffffe
	s_wait_alu 0xfffe
	s_cvt_u32_f32 s1, s1
	s_delay_alu instid0(TRANS32_DEP_1)
	v_readfirstlane_b32 s66, v2
	v_rcp_iflag_f32_e32 v2, s53
	s_cvt_u32_f32 s0, s0
	s_wait_alu 0xfffe
	s_mul_i32 s50, s50, s1
	s_lshl_b64 s[52:53], s[2:3], 1
	s_wait_alu 0xfffe
	s_mul_hi_u32 s50, s1, s50
	s_mul_i32 s51, s51, s0
	s_wait_alu 0xfffe
	s_add_co_i32 s65, s1, s50
	s_mul_f32 s1, s66, 0x4f7ffffe
	s_mul_hi_u32 s50, s0, s51
	v_readfirstlane_b32 s51, v4
	s_wait_alu 0xfffe
	s_add_co_i32 s67, s0, s50
	v_readfirstlane_b32 s50, v2
	s_cvt_u32_f32 s1, s1
	s_sub_co_i32 s0, 0, s61
	s_mul_f32 s51, s51, 0x4f7ffffe
	s_ashr_i32 s66, s19, 31
	s_wait_alu 0xfffe
	s_mul_i32 s0, s0, s1
	s_mul_f32 s50, s50, 0x4f7ffffe
	s_wait_alu 0xfffe
	s_mul_hi_u32 s0, s1, s0
	s_cvt_u32_f32 s51, s51
	s_wait_alu 0xfffe
	s_add_co_i32 s69, s1, s0
	s_sub_co_i32 s0, 0, s38
	s_cvt_u32_f32 s1, s50
	s_wait_alu 0xfffe
	s_mul_i32 s0, s0, s51
	s_sub_co_i32 s50, 0, s64
	s_wait_alu 0xfffe
	s_mul_hi_u32 s0, s51, s0
	s_mul_i32 s50, s50, s1
	s_wait_alu 0xfffe
	s_add_co_i32 s70, s51, s0
	s_mul_hi_u32 s0, s1, s50
	s_lshl_b64 s[50:51], s[40:41], 1
	s_wait_alu 0xfffe
	s_add_co_i32 s72, s1, s0
	s_branch .LBB11_3
.LBB11_2:                               ;   in Loop: Header=BB11_3 Depth=1
	v_mul_lo_u32 v3, v13, s35
	s_wait_kmcnt 0x0
	v_mul_lo_u32 v5, s28, v2
	v_bfe_u32 v6, v14, 16, 1
	v_mul_lo_u32 v7, s29, v12
	v_mul_lo_u32 v2, s30, v11
	;; [unrolled: 1-line block ×3, first 2 shown]
	s_delay_alu instid0(VALU_DEP_4) | instskip(SKIP_3) | instid1(VALU_DEP_4)
	v_add3_u32 v13, v14, v6, 0x7fff
	v_ashrrev_i32_e32 v4, 31, v3
	v_ashrrev_i32_e32 v6, 31, v5
	;; [unrolled: 1-line block ×3, first 2 shown]
	v_lshrrev_b32_e32 v13, 16, v13
	s_delay_alu instid0(VALU_DEP_4) | instskip(NEXT) | instid1(VALU_DEP_4)
	v_lshlrev_b64_e32 v[11:12], 1, v[3:4]
	v_lshlrev_b64_e32 v[4:5], 1, v[5:6]
	v_ashrrev_i32_e32 v3, 31, v2
	v_lshlrev_b64_e32 v[6:7], 1, v[7:8]
	v_ashrrev_i32_e32 v10, 31, v9
	v_add_co_u32 v11, vcc_lo, s46, v11
	s_wait_alu 0xfffd
	v_add_co_ci_u32_e64 v12, null, s47, v12, vcc_lo
	v_lshlrev_b64_e32 v[2:3], 1, v[2:3]
	s_delay_alu instid0(VALU_DEP_3) | instskip(SKIP_1) | instid1(VALU_DEP_3)
	v_add_co_u32 v4, vcc_lo, v11, v4
	s_wait_alu 0xfffd
	v_add_co_ci_u32_e64 v5, null, v12, v5, vcc_lo
	v_cmp_o_f32_e32 vcc_lo, v14, v14
	s_wait_alu 0xfffd
	v_cndmask_b32_e32 v8, 0x7fc0, v13, vcc_lo
	v_add_co_u32 v6, vcc_lo, v4, v6
	s_wait_alu 0xfffd
	v_add_co_ci_u32_e64 v7, null, v5, v7, vcc_lo
	v_add_co_u32 v0, vcc_lo, v0, s62
	v_lshlrev_b64_e32 v[4:5], 1, v[9:10]
	s_wait_alu 0xfffd
	v_add_co_ci_u32_e64 v1, null, 0, v1, vcc_lo
	v_add_co_u32 v2, vcc_lo, v6, v2
	s_wait_alu 0xfffd
	v_add_co_ci_u32_e64 v3, null, v7, v3, vcc_lo
	s_delay_alu instid0(VALU_DEP_3) | instskip(NEXT) | instid1(VALU_DEP_3)
	v_cmp_le_i64_e32 vcc_lo, s[36:37], v[0:1]
	v_add_co_u32 v2, s0, v2, v4
	s_wait_alu 0xf1ff
	s_delay_alu instid0(VALU_DEP_3)
	v_add_co_ci_u32_e64 v3, null, v3, v5, s0
	s_or_b32 s39, vcc_lo, s39
	global_store_b16 v[2:3], v8, off
	s_wait_alu 0xfffe
	s_and_not1_b32 exec_lo, exec_lo, s39
	s_cbranch_execz .LBB11_17
.LBB11_3:                               ; =>This Loop Header: Depth=1
                                        ;     Child Loop BB11_6 Depth 2
                                        ;       Child Loop BB11_9 Depth 3
                                        ;         Child Loop BB11_12 Depth 4
	v_sub_nc_u32_e32 v2, 0, v0
	s_delay_alu instid0(VALU_DEP_1) | instskip(NEXT) | instid1(VALU_DEP_1)
	v_max_i32_e32 v2, v0, v2
	v_mul_hi_u32 v3, v2, s65
	s_delay_alu instid0(VALU_DEP_1) | instskip(NEXT) | instid1(VALU_DEP_1)
	v_mul_lo_u32 v4, v3, s58
	v_sub_nc_u32_e32 v2, v2, v4
	v_add_nc_u32_e32 v4, 1, v3
	s_delay_alu instid0(VALU_DEP_2) | instskip(SKIP_2) | instid1(VALU_DEP_2)
	v_subrev_nc_u32_e32 v5, s58, v2
	v_cmp_le_u32_e32 vcc_lo, s58, v2
	s_wait_alu 0xfffd
	v_dual_cndmask_b32 v3, v3, v4 :: v_dual_cndmask_b32 v2, v2, v5
	v_ashrrev_i32_e32 v4, 31, v0
	s_delay_alu instid0(VALU_DEP_2) | instskip(NEXT) | instid1(VALU_DEP_3)
	v_add_nc_u32_e32 v5, 1, v3
	v_cmp_le_u32_e32 vcc_lo, s58, v2
	s_delay_alu instid0(VALU_DEP_3) | instskip(SKIP_1) | instid1(VALU_DEP_3)
	v_xor_b32_e32 v4, s63, v4
	s_wait_alu 0xfffd
	v_cndmask_b32_e32 v2, v3, v5, vcc_lo
	s_delay_alu instid0(VALU_DEP_1) | instskip(NEXT) | instid1(VALU_DEP_1)
	v_xor_b32_e32 v2, v2, v4
	v_sub_nc_u32_e32 v3, v2, v4
	s_delay_alu instid0(VALU_DEP_1) | instskip(NEXT) | instid1(VALU_DEP_1)
	v_sub_nc_u32_e32 v2, 0, v3
	v_max_i32_e32 v2, v3, v2
	s_delay_alu instid0(VALU_DEP_1) | instskip(NEXT) | instid1(VALU_DEP_1)
	v_mul_hi_u32 v4, v2, s67
	v_mul_lo_u32 v5, v4, s59
	s_delay_alu instid0(VALU_DEP_1) | instskip(SKIP_1) | instid1(VALU_DEP_2)
	v_sub_nc_u32_e32 v2, v2, v5
	v_add_nc_u32_e32 v5, 1, v4
	v_subrev_nc_u32_e32 v6, s59, v2
	v_cmp_le_u32_e32 vcc_lo, s59, v2
	s_wait_alu 0xfffd
	s_delay_alu instid0(VALU_DEP_3) | instskip(NEXT) | instid1(VALU_DEP_3)
	v_cndmask_b32_e32 v4, v4, v5, vcc_lo
	v_cndmask_b32_e32 v2, v2, v6, vcc_lo
	v_ashrrev_i32_e32 v5, 31, v3
	s_delay_alu instid0(VALU_DEP_3) | instskip(NEXT) | instid1(VALU_DEP_3)
	v_add_nc_u32_e32 v6, 1, v4
	v_cmp_le_u32_e32 vcc_lo, s59, v2
	s_delay_alu instid0(VALU_DEP_3) | instskip(SKIP_1) | instid1(VALU_DEP_3)
	v_xor_b32_e32 v5, s66, v5
	s_wait_alu 0xfffd
	v_cndmask_b32_e32 v2, v4, v6, vcc_lo
	s_delay_alu instid0(VALU_DEP_1) | instskip(NEXT) | instid1(VALU_DEP_1)
	v_xor_b32_e32 v2, v2, v5
	v_sub_nc_u32_e32 v4, v2, v5
	s_delay_alu instid0(VALU_DEP_1) | instskip(NEXT) | instid1(VALU_DEP_1)
	v_sub_nc_u32_e32 v2, 0, v4
	v_max_i32_e32 v2, v4, v2
	s_delay_alu instid0(VALU_DEP_1) | instskip(NEXT) | instid1(VALU_DEP_1)
	v_mul_hi_u32 v5, v2, s69
	v_mul_lo_u32 v6, v5, s61
	s_delay_alu instid0(VALU_DEP_1) | instskip(SKIP_1) | instid1(VALU_DEP_2)
	v_sub_nc_u32_e32 v2, v2, v6
	v_add_nc_u32_e32 v6, 1, v5
	v_subrev_nc_u32_e32 v7, s61, v2
	v_cmp_le_u32_e32 vcc_lo, s61, v2
	s_wait_alu 0xfffd
	s_delay_alu instid0(VALU_DEP_2) | instskip(SKIP_1) | instid1(VALU_DEP_2)
	v_dual_cndmask_b32 v5, v5, v6 :: v_dual_cndmask_b32 v2, v2, v7
	v_ashrrev_i32_e32 v6, 31, v4
	v_add_nc_u32_e32 v7, 1, v5
	s_delay_alu instid0(VALU_DEP_3) | instskip(NEXT) | instid1(VALU_DEP_3)
	v_cmp_le_u32_e32 vcc_lo, s61, v2
	v_xor_b32_e32 v6, s68, v6
	s_wait_alu 0xfffd
	s_delay_alu instid0(VALU_DEP_3) | instskip(NEXT) | instid1(VALU_DEP_1)
	v_cndmask_b32_e32 v2, v5, v7, vcc_lo
	v_xor_b32_e32 v2, v2, v6
	s_delay_alu instid0(VALU_DEP_1) | instskip(NEXT) | instid1(VALU_DEP_1)
	v_sub_nc_u32_e32 v2, v2, v6
	v_sub_nc_u32_e32 v5, 0, v2
	s_delay_alu instid0(VALU_DEP_1) | instskip(NEXT) | instid1(VALU_DEP_1)
	v_max_i32_e32 v5, v2, v5
	v_mul_hi_u32 v6, v5, s70
	s_delay_alu instid0(VALU_DEP_1) | instskip(NEXT) | instid1(VALU_DEP_1)
	v_mul_lo_u32 v7, v6, s38
	v_sub_nc_u32_e32 v5, v5, v7
	v_add_nc_u32_e32 v7, 1, v6
	s_delay_alu instid0(VALU_DEP_2) | instskip(SKIP_2) | instid1(VALU_DEP_2)
	v_subrev_nc_u32_e32 v8, s38, v5
	v_cmp_le_u32_e32 vcc_lo, s38, v5
	s_wait_alu 0xfffd
	v_dual_cndmask_b32 v6, v6, v7 :: v_dual_cndmask_b32 v5, v5, v8
	v_ashrrev_i32_e32 v7, 31, v2
	s_delay_alu instid0(VALU_DEP_2) | instskip(NEXT) | instid1(VALU_DEP_3)
	v_add_nc_u32_e32 v8, 1, v6
	v_cmp_le_u32_e32 vcc_lo, s38, v5
	s_delay_alu instid0(VALU_DEP_3) | instskip(SKIP_1) | instid1(VALU_DEP_3)
	v_xor_b32_e32 v7, s16, v7
	s_wait_alu 0xfffd
	v_cndmask_b32_e32 v5, v6, v8, vcc_lo
	v_mul_lo_u32 v6, v3, s34
	v_mul_lo_u32 v8, v2, s18
	s_and_not1_b32 vcc_lo, exec_lo, s12
	s_delay_alu instid0(VALU_DEP_3) | instskip(NEXT) | instid1(VALU_DEP_3)
	v_xor_b32_e32 v5, v5, v7
	v_sub_nc_u32_e32 v10, v0, v6
	s_delay_alu instid0(VALU_DEP_2) | instskip(SKIP_2) | instid1(VALU_DEP_3)
	v_sub_nc_u32_e32 v13, v5, v7
	v_mul_lo_u32 v7, v4, s19
	v_sub_nc_u32_e32 v12, v4, v8
	v_mul_lo_u32 v5, v13, s17
	s_delay_alu instid0(VALU_DEP_3) | instskip(NEXT) | instid1(VALU_DEP_2)
	v_sub_nc_u32_e32 v11, v3, v7
	v_sub_nc_u32_e32 v2, v2, v5
	s_delay_alu instid0(VALU_DEP_1)
	v_ashrrev_i32_e32 v3, 31, v2
	s_wait_alu 0xfffe
	s_cbranch_vccnz .LBB11_14
; %bb.4:                                ;   in Loop: Header=BB11_3 Depth=1
	v_sub_nc_u32_e32 v4, 0, v2
	v_mul_lo_u32 v9, v11, s5
	v_mul_lo_u32 v14, v10, s6
	;; [unrolled: 1-line block ×3, first 2 shown]
	s_mov_b32 s3, 0
	v_max_i32_e32 v4, v2, v4
	s_delay_alu instid0(VALU_DEP_3) | instskip(NEXT) | instid1(VALU_DEP_2)
	v_subrev_nc_u32_e32 v15, s9, v14
	v_mul_hi_u32 v5, v4, s72
	s_wait_kmcnt 0x0
	s_delay_alu instid0(VALU_DEP_2) | instskip(NEXT) | instid1(VALU_DEP_2)
	v_mul_lo_u32 v22, s60, v15
	v_mul_lo_u32 v6, v5, s64
	s_delay_alu instid0(VALU_DEP_2) | instskip(NEXT) | instid1(VALU_DEP_2)
	v_ashrrev_i32_e32 v23, 31, v22
	v_sub_nc_u32_e32 v4, v4, v6
	v_add_nc_u32_e32 v6, 1, v5
	s_delay_alu instid0(VALU_DEP_2) | instskip(SKIP_2) | instid1(VALU_DEP_2)
	v_subrev_nc_u32_e32 v7, s64, v4
	v_cmp_le_u32_e32 vcc_lo, s64, v4
	s_wait_alu 0xfffd
	v_dual_cndmask_b32 v5, v5, v6 :: v_dual_cndmask_b32 v4, v4, v7
	v_xor_b32_e32 v7, s71, v3
	s_delay_alu instid0(VALU_DEP_2) | instskip(NEXT) | instid1(VALU_DEP_3)
	v_add_nc_u32_e32 v6, 1, v5
	v_cmp_le_u32_e32 vcc_lo, s64, v4
	s_wait_alu 0xfffd
	s_delay_alu instid0(VALU_DEP_2) | instskip(SKIP_2) | instid1(VALU_DEP_3)
	v_cndmask_b32_e32 v4, v5, v6, vcc_lo
	v_mul_lo_u32 v5, v12, s4
	v_mul_lo_u32 v6, s24, v13
	v_xor_b32_e32 v4, v4, v7
	s_delay_alu instid0(VALU_DEP_1) | instskip(NEXT) | instid1(VALU_DEP_4)
	v_sub_nc_u32_e32 v7, v4, v7
	v_subrev_nc_u32_e32 v4, s7, v5
	v_subrev_nc_u32_e32 v5, s8, v9
	v_ashrrev_i32_e32 v9, 31, v8
	s_delay_alu instid0(VALU_DEP_4) | instskip(SKIP_4) | instid1(VALU_DEP_4)
	v_mul_lo_u32 v16, s25, v7
	v_ashrrev_i32_e32 v7, 31, v6
	v_mul_lo_u32 v18, s26, v4
	v_mul_lo_u32 v20, s27, v5
	v_lshlrev_b64_e32 v[8:9], 1, v[8:9]
	v_lshlrev_b64_e32 v[6:7], 1, v[6:7]
	v_ashrrev_i32_e32 v17, 31, v16
	v_ashrrev_i32_e32 v19, 31, v18
	;; [unrolled: 1-line block ×3, first 2 shown]
	s_delay_alu instid0(VALU_DEP_4) | instskip(NEXT) | instid1(VALU_DEP_4)
	v_add_co_u32 v14, vcc_lo, s44, v6
	v_lshlrev_b64_e32 v[16:17], 1, v[16:17]
	s_wait_alu 0xfffd
	v_add_co_ci_u32_e64 v24, null, s45, v7, vcc_lo
	v_lshlrev_b64_e32 v[6:7], 1, v[18:19]
	s_delay_alu instid0(VALU_DEP_3) | instskip(SKIP_1) | instid1(VALU_DEP_3)
	v_add_co_u32 v14, vcc_lo, v14, v16
	s_wait_alu 0xfffd
	v_add_co_ci_u32_e64 v18, null, v24, v17, vcc_lo
	v_lshlrev_b64_e32 v[16:17], 1, v[20:21]
	s_delay_alu instid0(VALU_DEP_3) | instskip(SKIP_1) | instid1(VALU_DEP_3)
	v_add_co_u32 v6, vcc_lo, v14, v6
	;; [unrolled: 5-line block ×3, first 2 shown]
	s_wait_alu 0xfffd
	v_add_co_ci_u32_e64 v16, null, v7, v17, vcc_lo
	v_add_co_u32 v6, vcc_lo, s48, v8
	s_wait_alu 0xfffd
	v_add_co_ci_u32_e64 v7, null, s49, v9, vcc_lo
	v_add_co_u32 v8, vcc_lo, v14, v18
	s_wait_alu 0xfffd
	v_add_co_ci_u32_e64 v9, null, v16, v19, vcc_lo
	v_mov_b32_e32 v14, 0
	s_branch .LBB11_6
.LBB11_5:                               ;   in Loop: Header=BB11_6 Depth=2
	v_add_co_u32 v8, vcc_lo, v8, s54
	s_wait_alu 0xfffd
	v_add_co_ci_u32_e64 v9, null, s55, v9, vcc_lo
	s_add_co_i32 s3, s3, 1
	s_wait_alu 0xfffe
	s_cmp_eq_u32 s3, s20
	s_cbranch_scc1 .LBB11_15
.LBB11_6:                               ;   Parent Loop BB11_3 Depth=1
                                        ; =>  This Loop Header: Depth=2
                                        ;       Child Loop BB11_9 Depth 3
                                        ;         Child Loop BB11_12 Depth 4
	s_and_not1_b32 vcc_lo, exec_lo, s33
	s_wait_alu 0xfffe
	s_cbranch_vccnz .LBB11_5
; %bb.7:                                ;   in Loop: Header=BB11_6 Depth=2
	v_mad_co_u64_u32 v[16:17], null, s3, s10, v[4:5]
	s_mov_b32 s41, 0
	v_cmp_lt_i32_e64 s0, -1, v16
	v_cmp_gt_i32_e64 s1, s13, v16
	s_branch .LBB11_9
.LBB11_8:                               ;   in Loop: Header=BB11_9 Depth=3
	v_add_co_u32 v8, vcc_lo, v8, s52
	s_wait_alu 0xfffd
	v_add_co_ci_u32_e64 v9, null, s53, v9, vcc_lo
	s_add_co_i32 s41, s41, 1
	s_wait_alu 0xfffe
	s_cmp_eq_u32 s41, s21
	s_cbranch_scc1 .LBB11_5
.LBB11_9:                               ;   Parent Loop BB11_3 Depth=1
                                        ;     Parent Loop BB11_6 Depth=2
                                        ; =>    This Loop Header: Depth=3
                                        ;         Child Loop BB11_12 Depth 4
	s_and_not1_b32 vcc_lo, exec_lo, s56
	s_wait_alu 0xfffe
	s_cbranch_vccnz .LBB11_8
; %bb.10:                               ;   in Loop: Header=BB11_9 Depth=3
	v_mad_co_u64_u32 v[17:18], null, s41, s11, v[5:6]
	v_mov_b32_e32 v16, v15
	s_mov_b32 s74, s22
	s_delay_alu instid0(VALU_DEP_2)
	v_cmp_lt_i32_e64 s2, -1, v17
	v_cmp_gt_i32_e32 vcc_lo, s14, v17
	s_and_b32 s73, s0, s2
	s_branch .LBB11_12
.LBB11_11:                              ;   in Loop: Header=BB11_12 Depth=4
	s_wait_alu 0xfffe
	s_or_b32 exec_lo, exec_lo, s2
	v_add_co_u32 v6, s2, v6, 2
	s_wait_alu 0xf1ff
	v_add_co_ci_u32_e64 v7, null, 0, v7, s2
	v_add_co_u32 v8, s2, v8, s50
	v_add_nc_u32_e32 v16, s40, v16
	s_wait_alu 0xf1ff
	v_add_co_ci_u32_e64 v9, null, s51, v9, s2
	s_add_co_i32 s74, s74, -1
	s_delay_alu instid0(SALU_CYCLE_1)
	s_cmp_eq_u32 s74, 0
	s_cbranch_scc1 .LBB11_8
.LBB11_12:                              ;   Parent Loop BB11_3 Depth=1
                                        ;     Parent Loop BB11_6 Depth=2
                                        ;       Parent Loop BB11_9 Depth=3
                                        ; =>      This Inner Loop Header: Depth=4
	v_cmp_lt_i32_e64 s2, -1, v16
	s_wait_alu 0xfffe
	s_and_b32 s75, s73, s2
	v_cmp_gt_i32_e64 s2, s15, v16
	s_and_b32 s75, s75, s1
	s_delay_alu instid0(SALU_CYCLE_1) | instskip(NEXT) | instid1(SALU_CYCLE_1)
	s_and_b32 s75, s75, vcc_lo
	s_and_b32 s75, s75, s2
	s_delay_alu instid0(SALU_CYCLE_1)
	s_and_saveexec_b32 s2, s75
	s_cbranch_execz .LBB11_11
; %bb.13:                               ;   in Loop: Header=BB11_12 Depth=4
	global_load_u16 v17, v[8:9], off
	global_load_u16 v18, v[6:7], off
	s_wait_loadcnt 0x1
	v_lshlrev_b32_e32 v17, 16, v17
	s_wait_loadcnt 0x0
	v_lshlrev_b32_e32 v18, 16, v18
	s_delay_alu instid0(VALU_DEP_1)
	v_fmac_f32_e32 v14, v18, v17
	s_branch .LBB11_11
.LBB11_14:                              ;   in Loop: Header=BB11_3 Depth=1
	v_mov_b32_e32 v14, 0
.LBB11_15:                              ;   in Loop: Header=BB11_3 Depth=1
	s_and_b32 vcc_lo, exec_lo, s57
	s_wait_alu 0xfffe
	s_cbranch_vccz .LBB11_2
; %bb.16:                               ;   in Loop: Header=BB11_3 Depth=1
	v_lshlrev_b64_e32 v[3:4], 1, v[2:3]
	s_delay_alu instid0(VALU_DEP_1) | instskip(SKIP_1) | instid1(VALU_DEP_2)
	v_add_co_u32 v3, vcc_lo, s42, v3
	s_wait_alu 0xfffd
	v_add_co_ci_u32_e64 v4, null, s43, v4, vcc_lo
	global_load_u16 v3, v[3:4], off
	s_wait_loadcnt 0x0
	v_lshlrev_b32_e32 v3, 16, v3
	s_delay_alu instid0(VALU_DEP_1)
	v_add_f32_e32 v14, v14, v3
	s_branch .LBB11_2
.LBB11_17:
	s_endpgm
	.section	.rodata,"a",@progbits
	.p2align	6, 0x0
	.amdhsa_kernel _ZN2at6native12_GLOBAL__N_128conv_depthwise3d_cuda_kernelIN3c108BFloat16EfLin1ELin1ELin1ELin1ELin1ELin1EEEvN5torch10headeronly6detail27GenericPackedTensorAccessorINS7_14TensorAccessorINS3_8ArrayRefIlEEKT_Lm4ENS6_16DefaultPtrTraitsEiEENS_6detail16IndexBoundsCheckILm5EiEESD_Lm5ESE_iEENS8_INS9_ISB_SC_Lm4ESE_iEESI_SC_Lm5ESE_iEESJ_PSD_iiiiiiiii
		.amdhsa_group_segment_fixed_size 0
		.amdhsa_private_segment_fixed_size 0
		.amdhsa_kernarg_size 448
		.amdhsa_user_sgpr_count 2
		.amdhsa_user_sgpr_dispatch_ptr 0
		.amdhsa_user_sgpr_queue_ptr 0
		.amdhsa_user_sgpr_kernarg_segment_ptr 1
		.amdhsa_user_sgpr_dispatch_id 0
		.amdhsa_user_sgpr_private_segment_size 0
		.amdhsa_wavefront_size32 1
		.amdhsa_uses_dynamic_stack 0
		.amdhsa_enable_private_segment 0
		.amdhsa_system_sgpr_workgroup_id_x 1
		.amdhsa_system_sgpr_workgroup_id_y 0
		.amdhsa_system_sgpr_workgroup_id_z 0
		.amdhsa_system_sgpr_workgroup_info 0
		.amdhsa_system_vgpr_workitem_id 0
		.amdhsa_next_free_vgpr 25
		.amdhsa_next_free_sgpr 76
		.amdhsa_reserve_vcc 1
		.amdhsa_float_round_mode_32 0
		.amdhsa_float_round_mode_16_64 0
		.amdhsa_float_denorm_mode_32 3
		.amdhsa_float_denorm_mode_16_64 3
		.amdhsa_fp16_overflow 0
		.amdhsa_workgroup_processor_mode 1
		.amdhsa_memory_ordered 1
		.amdhsa_forward_progress 1
		.amdhsa_inst_pref_size 19
		.amdhsa_round_robin_scheduling 0
		.amdhsa_exception_fp_ieee_invalid_op 0
		.amdhsa_exception_fp_denorm_src 0
		.amdhsa_exception_fp_ieee_div_zero 0
		.amdhsa_exception_fp_ieee_overflow 0
		.amdhsa_exception_fp_ieee_underflow 0
		.amdhsa_exception_fp_ieee_inexact 0
		.amdhsa_exception_int_div_zero 0
	.end_amdhsa_kernel
	.section	.text._ZN2at6native12_GLOBAL__N_128conv_depthwise3d_cuda_kernelIN3c108BFloat16EfLin1ELin1ELin1ELin1ELin1ELin1EEEvN5torch10headeronly6detail27GenericPackedTensorAccessorINS7_14TensorAccessorINS3_8ArrayRefIlEEKT_Lm4ENS6_16DefaultPtrTraitsEiEENS_6detail16IndexBoundsCheckILm5EiEESD_Lm5ESE_iEENS8_INS9_ISB_SC_Lm4ESE_iEESI_SC_Lm5ESE_iEESJ_PSD_iiiiiiiii,"axG",@progbits,_ZN2at6native12_GLOBAL__N_128conv_depthwise3d_cuda_kernelIN3c108BFloat16EfLin1ELin1ELin1ELin1ELin1ELin1EEEvN5torch10headeronly6detail27GenericPackedTensorAccessorINS7_14TensorAccessorINS3_8ArrayRefIlEEKT_Lm4ENS6_16DefaultPtrTraitsEiEENS_6detail16IndexBoundsCheckILm5EiEESD_Lm5ESE_iEENS8_INS9_ISB_SC_Lm4ESE_iEESI_SC_Lm5ESE_iEESJ_PSD_iiiiiiiii,comdat
.Lfunc_end11:
	.size	_ZN2at6native12_GLOBAL__N_128conv_depthwise3d_cuda_kernelIN3c108BFloat16EfLin1ELin1ELin1ELin1ELin1ELin1EEEvN5torch10headeronly6detail27GenericPackedTensorAccessorINS7_14TensorAccessorINS3_8ArrayRefIlEEKT_Lm4ENS6_16DefaultPtrTraitsEiEENS_6detail16IndexBoundsCheckILm5EiEESD_Lm5ESE_iEENS8_INS9_ISB_SC_Lm4ESE_iEESI_SC_Lm5ESE_iEESJ_PSD_iiiiiiiii, .Lfunc_end11-_ZN2at6native12_GLOBAL__N_128conv_depthwise3d_cuda_kernelIN3c108BFloat16EfLin1ELin1ELin1ELin1ELin1ELin1EEEvN5torch10headeronly6detail27GenericPackedTensorAccessorINS7_14TensorAccessorINS3_8ArrayRefIlEEKT_Lm4ENS6_16DefaultPtrTraitsEiEENS_6detail16IndexBoundsCheckILm5EiEESD_Lm5ESE_iEENS8_INS9_ISB_SC_Lm4ESE_iEESI_SC_Lm5ESE_iEESJ_PSD_iiiiiiiii
                                        ; -- End function
	.set _ZN2at6native12_GLOBAL__N_128conv_depthwise3d_cuda_kernelIN3c108BFloat16EfLin1ELin1ELin1ELin1ELin1ELin1EEEvN5torch10headeronly6detail27GenericPackedTensorAccessorINS7_14TensorAccessorINS3_8ArrayRefIlEEKT_Lm4ENS6_16DefaultPtrTraitsEiEENS_6detail16IndexBoundsCheckILm5EiEESD_Lm5ESE_iEENS8_INS9_ISB_SC_Lm4ESE_iEESI_SC_Lm5ESE_iEESJ_PSD_iiiiiiiii.num_vgpr, 25
	.set _ZN2at6native12_GLOBAL__N_128conv_depthwise3d_cuda_kernelIN3c108BFloat16EfLin1ELin1ELin1ELin1ELin1ELin1EEEvN5torch10headeronly6detail27GenericPackedTensorAccessorINS7_14TensorAccessorINS3_8ArrayRefIlEEKT_Lm4ENS6_16DefaultPtrTraitsEiEENS_6detail16IndexBoundsCheckILm5EiEESD_Lm5ESE_iEENS8_INS9_ISB_SC_Lm4ESE_iEESI_SC_Lm5ESE_iEESJ_PSD_iiiiiiiii.num_agpr, 0
	.set _ZN2at6native12_GLOBAL__N_128conv_depthwise3d_cuda_kernelIN3c108BFloat16EfLin1ELin1ELin1ELin1ELin1ELin1EEEvN5torch10headeronly6detail27GenericPackedTensorAccessorINS7_14TensorAccessorINS3_8ArrayRefIlEEKT_Lm4ENS6_16DefaultPtrTraitsEiEENS_6detail16IndexBoundsCheckILm5EiEESD_Lm5ESE_iEENS8_INS9_ISB_SC_Lm4ESE_iEESI_SC_Lm5ESE_iEESJ_PSD_iiiiiiiii.numbered_sgpr, 76
	.set _ZN2at6native12_GLOBAL__N_128conv_depthwise3d_cuda_kernelIN3c108BFloat16EfLin1ELin1ELin1ELin1ELin1ELin1EEEvN5torch10headeronly6detail27GenericPackedTensorAccessorINS7_14TensorAccessorINS3_8ArrayRefIlEEKT_Lm4ENS6_16DefaultPtrTraitsEiEENS_6detail16IndexBoundsCheckILm5EiEESD_Lm5ESE_iEENS8_INS9_ISB_SC_Lm4ESE_iEESI_SC_Lm5ESE_iEESJ_PSD_iiiiiiiii.num_named_barrier, 0
	.set _ZN2at6native12_GLOBAL__N_128conv_depthwise3d_cuda_kernelIN3c108BFloat16EfLin1ELin1ELin1ELin1ELin1ELin1EEEvN5torch10headeronly6detail27GenericPackedTensorAccessorINS7_14TensorAccessorINS3_8ArrayRefIlEEKT_Lm4ENS6_16DefaultPtrTraitsEiEENS_6detail16IndexBoundsCheckILm5EiEESD_Lm5ESE_iEENS8_INS9_ISB_SC_Lm4ESE_iEESI_SC_Lm5ESE_iEESJ_PSD_iiiiiiiii.private_seg_size, 0
	.set _ZN2at6native12_GLOBAL__N_128conv_depthwise3d_cuda_kernelIN3c108BFloat16EfLin1ELin1ELin1ELin1ELin1ELin1EEEvN5torch10headeronly6detail27GenericPackedTensorAccessorINS7_14TensorAccessorINS3_8ArrayRefIlEEKT_Lm4ENS6_16DefaultPtrTraitsEiEENS_6detail16IndexBoundsCheckILm5EiEESD_Lm5ESE_iEENS8_INS9_ISB_SC_Lm4ESE_iEESI_SC_Lm5ESE_iEESJ_PSD_iiiiiiiii.uses_vcc, 1
	.set _ZN2at6native12_GLOBAL__N_128conv_depthwise3d_cuda_kernelIN3c108BFloat16EfLin1ELin1ELin1ELin1ELin1ELin1EEEvN5torch10headeronly6detail27GenericPackedTensorAccessorINS7_14TensorAccessorINS3_8ArrayRefIlEEKT_Lm4ENS6_16DefaultPtrTraitsEiEENS_6detail16IndexBoundsCheckILm5EiEESD_Lm5ESE_iEENS8_INS9_ISB_SC_Lm4ESE_iEESI_SC_Lm5ESE_iEESJ_PSD_iiiiiiiii.uses_flat_scratch, 0
	.set _ZN2at6native12_GLOBAL__N_128conv_depthwise3d_cuda_kernelIN3c108BFloat16EfLin1ELin1ELin1ELin1ELin1ELin1EEEvN5torch10headeronly6detail27GenericPackedTensorAccessorINS7_14TensorAccessorINS3_8ArrayRefIlEEKT_Lm4ENS6_16DefaultPtrTraitsEiEENS_6detail16IndexBoundsCheckILm5EiEESD_Lm5ESE_iEENS8_INS9_ISB_SC_Lm4ESE_iEESI_SC_Lm5ESE_iEESJ_PSD_iiiiiiiii.has_dyn_sized_stack, 0
	.set _ZN2at6native12_GLOBAL__N_128conv_depthwise3d_cuda_kernelIN3c108BFloat16EfLin1ELin1ELin1ELin1ELin1ELin1EEEvN5torch10headeronly6detail27GenericPackedTensorAccessorINS7_14TensorAccessorINS3_8ArrayRefIlEEKT_Lm4ENS6_16DefaultPtrTraitsEiEENS_6detail16IndexBoundsCheckILm5EiEESD_Lm5ESE_iEENS8_INS9_ISB_SC_Lm4ESE_iEESI_SC_Lm5ESE_iEESJ_PSD_iiiiiiiii.has_recursion, 0
	.set _ZN2at6native12_GLOBAL__N_128conv_depthwise3d_cuda_kernelIN3c108BFloat16EfLin1ELin1ELin1ELin1ELin1ELin1EEEvN5torch10headeronly6detail27GenericPackedTensorAccessorINS7_14TensorAccessorINS3_8ArrayRefIlEEKT_Lm4ENS6_16DefaultPtrTraitsEiEENS_6detail16IndexBoundsCheckILm5EiEESD_Lm5ESE_iEENS8_INS9_ISB_SC_Lm4ESE_iEESI_SC_Lm5ESE_iEESJ_PSD_iiiiiiiii.has_indirect_call, 0
	.section	.AMDGPU.csdata,"",@progbits
; Kernel info:
; codeLenInByte = 2344
; TotalNumSgprs: 78
; NumVgprs: 25
; ScratchSize: 0
; MemoryBound: 0
; FloatMode: 240
; IeeeMode: 1
; LDSByteSize: 0 bytes/workgroup (compile time only)
; SGPRBlocks: 0
; VGPRBlocks: 3
; NumSGPRsForWavesPerEU: 78
; NumVGPRsForWavesPerEU: 25
; Occupancy: 16
; WaveLimiterHint : 0
; COMPUTE_PGM_RSRC2:SCRATCH_EN: 0
; COMPUTE_PGM_RSRC2:USER_SGPR: 2
; COMPUTE_PGM_RSRC2:TRAP_HANDLER: 0
; COMPUTE_PGM_RSRC2:TGID_X_EN: 1
; COMPUTE_PGM_RSRC2:TGID_Y_EN: 0
; COMPUTE_PGM_RSRC2:TGID_Z_EN: 0
; COMPUTE_PGM_RSRC2:TIDIG_COMP_CNT: 0
	.section	.text._ZN2at6native12_GLOBAL__N_143conv_depthwise3d_cuda_backward_input_kernelIddLi3ELi3ELi3ELi1ELi1ELi1ELi1ELi1ELi1EEEvN5torch10headeronly6detail27GenericPackedTensorAccessorINS5_14TensorAccessorIN3c108ArrayRefIlEEKT_Lm4ENS4_16DefaultPtrTraitsEiEENS_6detail16IndexBoundsCheckILm5EiEESC_Lm5ESD_iEENS6_INS7_ISA_SB_Lm4ESD_iEESH_SB_Lm5ESD_iEESI_iiiiiiiii,"axG",@progbits,_ZN2at6native12_GLOBAL__N_143conv_depthwise3d_cuda_backward_input_kernelIddLi3ELi3ELi3ELi1ELi1ELi1ELi1ELi1ELi1EEEvN5torch10headeronly6detail27GenericPackedTensorAccessorINS5_14TensorAccessorIN3c108ArrayRefIlEEKT_Lm4ENS4_16DefaultPtrTraitsEiEENS_6detail16IndexBoundsCheckILm5EiEESC_Lm5ESD_iEENS6_INS7_ISA_SB_Lm4ESD_iEESH_SB_Lm5ESD_iEESI_iiiiiiiii,comdat
	.globl	_ZN2at6native12_GLOBAL__N_143conv_depthwise3d_cuda_backward_input_kernelIddLi3ELi3ELi3ELi1ELi1ELi1ELi1ELi1ELi1EEEvN5torch10headeronly6detail27GenericPackedTensorAccessorINS5_14TensorAccessorIN3c108ArrayRefIlEEKT_Lm4ENS4_16DefaultPtrTraitsEiEENS_6detail16IndexBoundsCheckILm5EiEESC_Lm5ESD_iEENS6_INS7_ISA_SB_Lm4ESD_iEESH_SB_Lm5ESD_iEESI_iiiiiiiii ; -- Begin function _ZN2at6native12_GLOBAL__N_143conv_depthwise3d_cuda_backward_input_kernelIddLi3ELi3ELi3ELi1ELi1ELi1ELi1ELi1ELi1EEEvN5torch10headeronly6detail27GenericPackedTensorAccessorINS5_14TensorAccessorIN3c108ArrayRefIlEEKT_Lm4ENS4_16DefaultPtrTraitsEiEENS_6detail16IndexBoundsCheckILm5EiEESC_Lm5ESD_iEENS6_INS7_ISA_SB_Lm4ESD_iEESH_SB_Lm5ESD_iEESI_iiiiiiiii
	.p2align	8
	.type	_ZN2at6native12_GLOBAL__N_143conv_depthwise3d_cuda_backward_input_kernelIddLi3ELi3ELi3ELi1ELi1ELi1ELi1ELi1ELi1EEEvN5torch10headeronly6detail27GenericPackedTensorAccessorINS5_14TensorAccessorIN3c108ArrayRefIlEEKT_Lm4ENS4_16DefaultPtrTraitsEiEENS_6detail16IndexBoundsCheckILm5EiEESC_Lm5ESD_iEENS6_INS7_ISA_SB_Lm4ESD_iEESH_SB_Lm5ESD_iEESI_iiiiiiiii,@function
_ZN2at6native12_GLOBAL__N_143conv_depthwise3d_cuda_backward_input_kernelIddLi3ELi3ELi3ELi1ELi1ELi1ELi1ELi1ELi1EEEvN5torch10headeronly6detail27GenericPackedTensorAccessorINS5_14TensorAccessorIN3c108ArrayRefIlEEKT_Lm4ENS4_16DefaultPtrTraitsEiEENS_6detail16IndexBoundsCheckILm5EiEESC_Lm5ESD_iEENS6_INS7_ISA_SB_Lm4ESD_iEESH_SB_Lm5ESD_iEESI_iiiiiiiii: ; @_ZN2at6native12_GLOBAL__N_143conv_depthwise3d_cuda_backward_input_kernelIddLi3ELi3ELi3ELi1ELi1ELi1ELi1ELi1ELi1EEEvN5torch10headeronly6detail27GenericPackedTensorAccessorINS5_14TensorAccessorIN3c108ArrayRefIlEEKT_Lm4ENS4_16DefaultPtrTraitsEiEENS_6detail16IndexBoundsCheckILm5EiEESC_Lm5ESD_iEENS6_INS7_ISA_SB_Lm4ESD_iEESH_SB_Lm5ESD_iEESI_iiiiiiiii
; %bb.0:
	s_clause 0x2
	s_load_b128 s[4:7], s[0:1], 0x38
	s_load_b32 s2, s[0:1], 0xc4
	s_load_b64 s[20:21], s[0:1], 0x48
	v_mov_b32_e32 v1, 0
	s_wait_kmcnt 0x0
	s_abs_i32 s33, s5
	s_and_b32 s2, s2, 0xffff
	s_cvt_f32_u32 s3, s33
	v_mad_co_u64_u32 v[0:1], null, s2, ttmp9, v[0:1]
	s_mul_i32 s22, s21, s4
	s_delay_alu instid0(SALU_CYCLE_1) | instskip(SKIP_2) | instid1(TRANS32_DEP_1)
	v_rcp_iflag_f32_e32 v2, s3
	s_ashr_i32 s23, s22, 31
	s_mov_b32 s4, exec_lo
	v_readfirstlane_b32 s3, v2
	v_cmpx_gt_i64_e64 s[22:23], v[0:1]
	s_cbranch_execz .LBB12_62
; %bb.1:
	s_clause 0x1
	s_load_b128 s[8:11], s[0:1], 0xc
	s_load_b64 s[24:25], s[0:1], 0x0
	s_mul_f32 s3, s3, 0x4f7ffffe
	s_sub_co_i32 s4, 0, s33
	s_mov_b32 s19, 0
	s_ashr_i32 s34, s5, 31
	s_wait_alu 0xfffe
	s_cvt_u32_f32 s3, s3
	s_mov_b32 s13, s19
	v_readfirstlane_b32 s26, v2
	s_add_nc_u64 s[14:15], s[0:1], 0xb8
	s_wait_alu 0xfffe
	s_mul_i32 s12, s4, s3
	s_delay_alu instid0(SALU_CYCLE_1) | instskip(NEXT) | instid1(SALU_CYCLE_1)
	s_mul_hi_u32 s12, s3, s12
	s_add_co_i32 s12, s3, s12
	s_wait_kmcnt 0x0
	s_abs_i32 s18, s8
	s_ashr_i32 s3, s8, 31
	s_mul_u64 s[12:13], s[18:19], s[12:13]
	s_wait_alu 0xfffe
	s_xor_b32 s3, s3, s34
	s_mul_i32 s8, s13, s33
	s_add_co_i32 s12, s13, 1
	s_sub_co_i32 s8, s18, s8
	s_delay_alu instid0(SALU_CYCLE_1)
	s_sub_co_i32 s16, s8, s33
	s_cmp_ge_u32 s8, s33
	s_cselect_b32 s12, s12, s13
	s_cselect_b32 s8, s16, s8
	s_add_co_i32 s13, s12, 1
	s_cmp_ge_u32 s8, s33
	s_clause 0x1
	s_load_b96 s[16:18], s[0:1], 0x9c
	s_load_b32 s8, s[0:1], 0x7c
	s_cselect_b32 s12, s13, s12
	s_load_b32 s40, s[14:15], 0x0
	s_xor_b32 s12, s12, s3
	s_mul_f32 s13, s26, 0x4f7ffffe
	s_sub_co_i32 s35, s12, s3
	s_clause 0x1
	s_load_b64 s[26:27], s[0:1], 0x1c
	s_load_b64 s[28:29], s[0:1], 0x30
	s_cmp_gt_i32 s35, 0
	s_cvt_u32_f32 s3, s13
	s_cselect_b32 s36, -1, 0
	s_abs_i32 s37, s20
	s_abs_i32 s38, s7
	;; [unrolled: 1-line block ×3, first 2 shown]
	s_cvt_f32_u32 s12, s37
	s_cvt_f32_u32 s13, s38
	;; [unrolled: 1-line block ×3, first 2 shown]
	s_wait_alu 0xfffe
	s_mul_i32 s4, s4, s3
	v_rcp_iflag_f32_e32 v2, s12
	v_rcp_iflag_f32_e32 v3, s13
	;; [unrolled: 1-line block ×3, first 2 shown]
	s_clause 0x1
	s_load_b64 s[30:31], s[0:1], 0x60
	s_load_b128 s[12:15], s[0:1], 0x50
	s_mul_hi_u32 s0, s3, s4
	s_wait_kmcnt 0x0
	s_mul_i32 s40, s40, s2
	s_wait_alu 0xfffe
	s_add_co_i32 s44, s3, s0
	s_sub_co_i32 s3, 0, s37
	s_sub_co_i32 s4, 0, s38
	;; [unrolled: 1-line block ×3, first 2 shown]
	v_readfirstlane_b32 s0, v2
	v_readfirstlane_b32 s1, v3
	;; [unrolled: 1-line block ×3, first 2 shown]
	s_ashr_i32 s41, s20, 31
	s_ashr_i32 s42, s7, 31
	s_mul_f32 s0, s0, 0x4f7ffffe
	s_mul_f32 s1, s1, 0x4f7ffffe
	;; [unrolled: 1-line block ×3, first 2 shown]
	s_ashr_i32 s43, s6, 31
	s_wait_alu 0xfffe
	s_cvt_u32_f32 s0, s0
	s_cvt_u32_f32 s1, s1
	;; [unrolled: 1-line block ×3, first 2 shown]
	s_mul_i32 s48, s27, s35
	s_wait_alu 0xfffe
	s_mul_i32 s3, s3, s0
	s_mul_i32 s4, s4, s1
	;; [unrolled: 1-line block ×3, first 2 shown]
	s_wait_alu 0xfffe
	s_mul_hi_u32 s3, s0, s3
	s_mul_hi_u32 s4, s1, s4
	;; [unrolled: 1-line block ×3, first 2 shown]
	s_wait_alu 0xfffe
	s_add_co_i32 s45, s0, s3
	s_add_co_i32 s46, s1, s4
	;; [unrolled: 1-line block ×3, first 2 shown]
	s_branch .LBB12_4
.LBB12_2:                               ;   in Loop: Header=BB12_4 Depth=1
	s_or_b32 exec_lo, exec_lo, s71
.LBB12_3:                               ;   in Loop: Header=BB12_4 Depth=1
	v_mul_lo_u32 v2, v173, s21
	v_mul_lo_u32 v6, s12, v174
	v_mul_lo_u32 v8, s13, v172
	v_mul_lo_u32 v10, s14, v171
	v_add_co_u32 v0, vcc_lo, v0, s40
	s_wait_alu 0xfffd
	v_add_co_ci_u32_e64 v1, null, 0, v1, vcc_lo
	v_ashrrev_i32_e32 v3, 31, v2
	v_ashrrev_i32_e32 v7, 31, v6
	v_ashrrev_i32_e32 v9, 31, v8
	v_mul_lo_u32 v12, s15, v170
	v_ashrrev_i32_e32 v11, 31, v10
	v_lshlrev_b64_e32 v[2:3], 3, v[2:3]
	v_lshlrev_b64_e32 v[6:7], 3, v[6:7]
	s_delay_alu instid0(VALU_DEP_4) | instskip(NEXT) | instid1(VALU_DEP_3)
	v_ashrrev_i32_e32 v13, 31, v12
	v_add_co_u32 v14, vcc_lo, s28, v2
	s_wait_alu 0xfffd
	s_delay_alu instid0(VALU_DEP_4) | instskip(SKIP_1) | instid1(VALU_DEP_3)
	v_add_co_ci_u32_e64 v15, null, s29, v3, vcc_lo
	v_lshlrev_b64_e32 v[2:3], 3, v[8:9]
	v_add_co_u32 v8, vcc_lo, v14, v6
	s_wait_alu 0xfffd
	s_delay_alu instid0(VALU_DEP_3) | instskip(SKIP_1) | instid1(VALU_DEP_3)
	v_add_co_ci_u32_e64 v9, null, v15, v7, vcc_lo
	v_lshlrev_b64_e32 v[6:7], 3, v[10:11]
	v_add_co_u32 v8, vcc_lo, v8, v2
	s_wait_alu 0xfffd
	s_delay_alu instid0(VALU_DEP_3) | instskip(SKIP_1) | instid1(VALU_DEP_3)
	;; [unrolled: 5-line block ×3, first 2 shown]
	v_add_co_ci_u32_e64 v7, null, v9, v7, vcc_lo
	v_cmp_le_i64_e32 vcc_lo, s[22:23], v[0:1]
	v_add_co_u32 v2, s0, v6, v2
	s_wait_alu 0xf1ff
	s_delay_alu instid0(VALU_DEP_3)
	v_add_co_ci_u32_e64 v3, null, v7, v3, s0
	s_or_b32 s19, vcc_lo, s19
	global_store_b64 v[2:3], v[4:5], off
	s_wait_alu 0xfffe
	s_and_not1_b32 exec_lo, exec_lo, s19
	s_cbranch_execz .LBB12_62
.LBB12_4:                               ; =>This Loop Header: Depth=1
                                        ;     Child Loop BB12_7 Depth 2
	v_sub_nc_u32_e32 v2, 0, v0
	s_delay_alu instid0(VALU_DEP_1) | instskip(NEXT) | instid1(VALU_DEP_1)
	v_max_i32_e32 v2, v0, v2
	v_mul_hi_u32 v3, v2, s45
	s_delay_alu instid0(VALU_DEP_1) | instskip(NEXT) | instid1(VALU_DEP_1)
	v_mul_lo_u32 v4, v3, s37
	v_sub_nc_u32_e32 v2, v2, v4
	v_add_nc_u32_e32 v4, 1, v3
	s_delay_alu instid0(VALU_DEP_2) | instskip(SKIP_2) | instid1(VALU_DEP_2)
	v_subrev_nc_u32_e32 v5, s37, v2
	v_cmp_le_u32_e32 vcc_lo, s37, v2
	s_wait_alu 0xfffd
	v_dual_cndmask_b32 v3, v3, v4 :: v_dual_cndmask_b32 v2, v2, v5
	v_ashrrev_i32_e32 v4, 31, v0
	s_delay_alu instid0(VALU_DEP_2) | instskip(NEXT) | instid1(VALU_DEP_3)
	v_add_nc_u32_e32 v5, 1, v3
	v_cmp_le_u32_e32 vcc_lo, s37, v2
	s_delay_alu instid0(VALU_DEP_3) | instskip(SKIP_1) | instid1(VALU_DEP_3)
	v_xor_b32_e32 v4, s41, v4
	s_wait_alu 0xfffd
	v_cndmask_b32_e32 v2, v3, v5, vcc_lo
	s_delay_alu instid0(VALU_DEP_1) | instskip(NEXT) | instid1(VALU_DEP_1)
	v_xor_b32_e32 v2, v2, v4
	v_sub_nc_u32_e32 v2, v2, v4
	s_delay_alu instid0(VALU_DEP_1) | instskip(NEXT) | instid1(VALU_DEP_1)
	v_sub_nc_u32_e32 v3, 0, v2
	v_max_i32_e32 v3, v2, v3
	s_delay_alu instid0(VALU_DEP_1) | instskip(NEXT) | instid1(VALU_DEP_1)
	v_mul_hi_u32 v4, v3, s46
	v_mul_lo_u32 v5, v4, s38
	s_delay_alu instid0(VALU_DEP_1) | instskip(SKIP_1) | instid1(VALU_DEP_2)
	v_sub_nc_u32_e32 v3, v3, v5
	v_add_nc_u32_e32 v5, 1, v4
	v_subrev_nc_u32_e32 v6, s38, v3
	v_cmp_le_u32_e32 vcc_lo, s38, v3
	s_wait_alu 0xfffd
	s_delay_alu instid0(VALU_DEP_2) | instskip(SKIP_1) | instid1(VALU_DEP_2)
	v_dual_cndmask_b32 v4, v4, v5 :: v_dual_cndmask_b32 v3, v3, v6
	v_ashrrev_i32_e32 v5, 31, v2
	v_add_nc_u32_e32 v6, 1, v4
	s_delay_alu instid0(VALU_DEP_3) | instskip(NEXT) | instid1(VALU_DEP_3)
	v_cmp_le_u32_e32 vcc_lo, s38, v3
	v_xor_b32_e32 v5, s42, v5
	s_wait_alu 0xfffd
	s_delay_alu instid0(VALU_DEP_3) | instskip(NEXT) | instid1(VALU_DEP_1)
	v_cndmask_b32_e32 v3, v4, v6, vcc_lo
	v_xor_b32_e32 v3, v3, v5
	s_delay_alu instid0(VALU_DEP_1) | instskip(NEXT) | instid1(VALU_DEP_1)
	v_sub_nc_u32_e32 v3, v3, v5
	v_sub_nc_u32_e32 v4, 0, v3
	s_delay_alu instid0(VALU_DEP_1) | instskip(NEXT) | instid1(VALU_DEP_1)
	v_max_i32_e32 v4, v3, v4
	v_mul_hi_u32 v5, v4, s47
	s_delay_alu instid0(VALU_DEP_1) | instskip(NEXT) | instid1(VALU_DEP_1)
	v_mul_lo_u32 v6, v5, s39
	v_sub_nc_u32_e32 v4, v4, v6
	v_add_nc_u32_e32 v6, 1, v5
	s_delay_alu instid0(VALU_DEP_2) | instskip(SKIP_2) | instid1(VALU_DEP_2)
	v_subrev_nc_u32_e32 v7, s39, v4
	v_cmp_le_u32_e32 vcc_lo, s39, v4
	s_wait_alu 0xfffd
	v_dual_cndmask_b32 v5, v5, v6 :: v_dual_cndmask_b32 v4, v4, v7
	v_ashrrev_i32_e32 v6, 31, v3
	s_delay_alu instid0(VALU_DEP_2) | instskip(NEXT) | instid1(VALU_DEP_3)
	v_add_nc_u32_e32 v7, 1, v5
	v_cmp_le_u32_e32 vcc_lo, s39, v4
	s_delay_alu instid0(VALU_DEP_3) | instskip(SKIP_1) | instid1(VALU_DEP_3)
	v_xor_b32_e32 v6, s43, v6
	s_wait_alu 0xfffd
	v_cndmask_b32_e32 v4, v5, v7, vcc_lo
	s_delay_alu instid0(VALU_DEP_1) | instskip(NEXT) | instid1(VALU_DEP_1)
	v_xor_b32_e32 v4, v4, v6
	v_sub_nc_u32_e32 v4, v4, v6
	s_delay_alu instid0(VALU_DEP_1) | instskip(NEXT) | instid1(VALU_DEP_1)
	v_sub_nc_u32_e32 v5, 0, v4
	v_max_i32_e32 v5, v4, v5
	s_delay_alu instid0(VALU_DEP_1) | instskip(NEXT) | instid1(VALU_DEP_1)
	v_mul_hi_u32 v6, v5, s44
	v_mul_lo_u32 v7, v6, s33
	s_delay_alu instid0(VALU_DEP_1) | instskip(SKIP_1) | instid1(VALU_DEP_2)
	v_sub_nc_u32_e32 v5, v5, v7
	v_add_nc_u32_e32 v7, 1, v6
	v_subrev_nc_u32_e32 v8, s33, v5
	v_cmp_le_u32_e32 vcc_lo, s33, v5
	s_wait_alu 0xfffd
	s_delay_alu instid0(VALU_DEP_2) | instskip(SKIP_1) | instid1(VALU_DEP_2)
	v_dual_cndmask_b32 v6, v6, v7 :: v_dual_cndmask_b32 v5, v5, v8
	v_ashrrev_i32_e32 v7, 31, v4
	v_add_nc_u32_e32 v8, 1, v6
	s_delay_alu instid0(VALU_DEP_3) | instskip(NEXT) | instid1(VALU_DEP_3)
	v_cmp_le_u32_e32 vcc_lo, s33, v5
	v_xor_b32_e32 v7, s34, v7
	s_wait_alu 0xfffd
	s_delay_alu instid0(VALU_DEP_3) | instskip(SKIP_2) | instid1(VALU_DEP_2)
	v_cndmask_b32_e32 v5, v6, v8, vcc_lo
	v_mul_lo_u32 v6, v3, s7
	s_and_not1_b32 vcc_lo, exec_lo, s36
	v_xor_b32_e32 v5, v5, v7
	s_delay_alu instid0(VALU_DEP_2) | instskip(NEXT) | instid1(VALU_DEP_2)
	v_sub_nc_u32_e32 v171, v2, v6
	v_sub_nc_u32_e32 v173, v5, v7
	v_mul_lo_u32 v5, v2, s20
	v_mul_lo_u32 v7, v4, s6
	s_delay_alu instid0(VALU_DEP_3) | instskip(NEXT) | instid1(VALU_DEP_3)
	v_mul_lo_u32 v8, v173, s5
	v_sub_nc_u32_e32 v170, v0, v5
	s_delay_alu instid0(VALU_DEP_3) | instskip(NEXT) | instid1(VALU_DEP_3)
	v_sub_nc_u32_e32 v172, v3, v7
	v_sub_nc_u32_e32 v174, v4, v8
	s_wait_alu 0xfffe
	s_cbranch_vccnz .LBB12_61
; %bb.5:                                ;   in Loop: Header=BB12_4 Depth=1
	s_delay_alu instid0(VALU_DEP_1) | instskip(SKIP_4) | instid1(VALU_DEP_3)
	v_mul_lo_u32 v175, v174, s35
	v_mul_lo_u32 v2, s26, v173
	v_add_nc_u32_e32 v39, s17, v171
	v_add_nc_u32_e32 v4, s18, v170
	;; [unrolled: 1-line block ×3, first 2 shown]
	v_cmp_gt_i32_e64 s0, s10, v39
	v_mul_lo_u32 v5, s8, v175
	v_ashrrev_i32_e32 v3, 31, v2
	v_or_b32_e32 v8, v4, v39
	v_add_nc_u32_e32 v57, -1, v4
	v_cmp_gt_i32_e32 vcc_lo, s9, v9
	v_add_nc_u32_e32 v59, -2, v4
	v_lshlrev_b64_e32 v[2:3], 3, v[2:3]
	v_add_nc_u32_e32 v46, -1, v39
	v_ashrrev_i32_e32 v6, 31, v5
	v_or_b32_e32 v11, v57, v39
	v_or_b32_e32 v13, v59, v39
	v_mul_lo_u32 v23, v9, s10
	v_add_co_u32 v177, s1, s24, v2
	v_lshlrev_b64_e32 v[5:6], 3, v[5:6]
	s_wait_alu 0xf1ff
	v_add_co_ci_u32_e64 v178, null, s25, v3, s1
	v_or_b32_e32 v10, v11, v9
	v_or_b32_e32 v14, v13, v9
	;; [unrolled: 1-line block ×3, first 2 shown]
	v_add_co_u32 v2, s1, s30, v5
	s_wait_alu 0xf1ff
	v_add_co_ci_u32_e64 v3, null, s31, v6, s1
	v_or_b32_e32 v6, v8, v9
	v_cmp_gt_i32_e64 s1, s11, v4
	v_cmp_lt_i32_e64 s3, -1, v10
	v_cmp_lt_i32_e64 s4, -1, v14
	v_or_b32_e32 v14, v15, v9
	v_cmp_lt_i32_e64 s2, -1, v6
	s_and_b32 s64, s1, s0
	v_or_b32_e32 v17, v57, v46
	v_add_nc_u32_e32 v16, v46, v23
	v_or_b32_e32 v18, v59, v46
	s_and_b32 s2, s64, s2
	v_add_nc_u32_e32 v51, -2, v39
	s_wait_alu 0xfffe
	s_and_b32 s49, s2, vcc_lo
	v_cmp_gt_i32_e64 s2, s11, v57
	v_mul_lo_u32 v19, v16, s11
	v_or_b32_e32 v16, v17, v9
	v_or_b32_e32 v20, v18, v9
	v_or_b32_e32 v25, v57, v51
	s_and_b32 s65, s2, s0
	v_or_b32_e32 v5, v4, v51
	s_and_b32 s3, s65, s3
	v_or_b32_e32 v27, v59, v51
	s_wait_alu 0xfffe
	s_and_b32 s50, s3, vcc_lo
	v_cmp_gt_i32_e64 s3, s11, v59
	v_or_b32_e32 v21, v25, v9
	v_add_nc_u32_e32 v43, -2, v9
	v_add_nc_u32_e32 v6, -1, v9
	v_subrev_nc_u32_e32 v37, s10, v23
	s_and_b32 s66, s3, s0
	v_cmp_gt_i32_e64 s0, s10, v46
	s_and_b32 s4, s66, s4
	v_or_b32_e32 v24, v8, v6
	s_wait_alu 0xfffe
	s_and_b32 s51, s4, vcc_lo
	v_cmp_lt_i32_e64 s4, -1, v14
	s_and_b32 s67, s1, s0
	s_and_b32 s68, s2, s0
	;; [unrolled: 1-line block ×3, first 2 shown]
	v_or_b32_e32 v26, v11, v6
	s_and_b32 s4, s67, s4
	v_or_b32_e32 v29, v13, v6
	s_wait_alu 0xfffe
	s_and_b32 s52, s4, vcc_lo
	v_cmp_lt_i32_e64 s4, -1, v16
	v_or_b32_e32 v30, v15, v6
	v_or_b32_e32 v31, v17, v6
	;; [unrolled: 1-line block ×4, first 2 shown]
	s_and_b32 s4, s68, s4
	v_or_b32_e32 v40, v25, v6
	s_wait_alu 0xfffe
	s_and_b32 s53, s4, vcc_lo
	v_cmp_lt_i32_e64 s4, -1, v20
	v_add_nc_u32_e32 v20, v51, v23
	v_or_b32_e32 v41, v27, v6
	v_or_b32_e32 v44, v8, v43
	;; [unrolled: 1-line block ×3, first 2 shown]
	s_and_b32 s0, s69, s4
	v_mul_lo_u32 v28, v20, s11
	s_wait_alu 0xfffe
	s_and_b32 s54, s0, vcc_lo
	v_cmp_gt_i32_e64 s0, s10, v51
	v_or_b32_e32 v20, v5, v9
	v_or_b32_e32 v9, v27, v9
	;; [unrolled: 1-line block ×3, first 2 shown]
	v_add_nc_u32_e32 v25, v39, v37
	s_and_b32 s72, s1, s0
	v_cmp_lt_i32_e64 s1, -1, v21
	s_and_b32 s71, s2, s0
	v_cmp_lt_i32_e64 s4, -1, v20
	;; [unrolled: 2-line block ×3, first 2 shown]
	s_and_b32 s1, s71, s1
	v_or_b32_e32 v45, v11, v43
	s_wait_alu 0xfffe
	s_and_b32 s2, s1, vcc_lo
	v_cmp_lt_i32_e64 s1, -1, v9
	s_and_b32 s4, s72, s4
	s_and_b32 s0, s64, s0
	s_wait_alu 0xfffe
	s_and_b32 s4, s4, vcc_lo
	v_mul_lo_u32 v32, v25, s11
	s_and_b32 s3, s70, s1
	v_cmp_gt_i32_e64 s1, s9, v6
	s_wait_alu 0xfffe
	s_and_b32 s3, s3, vcc_lo
	v_cmp_lt_i32_e32 vcc_lo, -1, v26
	v_add_nc_u32_e32 v6, v46, v37
	v_or_b32_e32 v47, v13, v43
	s_and_b32 s55, s0, s1
	v_add_nc_u32_e32 v36, v51, v37
	s_and_b32 s0, s65, vcc_lo
	v_cmp_lt_i32_e32 vcc_lo, -1, v29
	s_wait_alu 0xfffe
	s_and_b32 s56, s0, s1
	v_cmp_lt_i32_e64 s0, -1, v30
	v_mul_lo_u32 v6, v6, s11
	v_or_b32_e32 v48, v15, v43
	s_and_b32 s57, s66, vcc_lo
	v_cmp_lt_i32_e32 vcc_lo, -1, v31
	s_and_b32 s0, s67, s0
	s_and_b32 s57, s57, s1
	s_wait_alu 0xfffe
	s_and_b32 s58, s0, s1
	v_or_b32_e32 v49, v17, v43
	s_and_b32 s0, s68, vcc_lo
	v_cmp_lt_i32_e32 vcc_lo, -1, v35
	s_wait_alu 0xfffe
	s_and_b32 s59, s0, s1
	v_cmp_lt_i32_e64 s0, -1, v5
	v_subrev_nc_u32_e32 v5, s10, v37
	v_add_nc_u32_e32 v7, v39, v23
	s_and_b32 s60, s69, vcc_lo
	v_cmp_lt_i32_e32 vcc_lo, -1, v40
	s_and_b32 s0, s72, s0
	s_and_b32 s60, s60, s1
	s_wait_alu 0xfffe
	s_and_b32 s61, s0, s1
	v_cmp_lt_i32_e64 s0, -1, v41
	s_and_b32 s62, s71, vcc_lo
	v_cmp_lt_i32_e32 vcc_lo, -1, v44
	s_and_b32 s62, s62, s1
	v_add_nc_u32_e32 v20, v4, v28
	s_and_b32 s0, s70, s0
	v_add_nc_u32_e32 v22, v57, v28
	s_wait_alu 0xfffe
	s_and_b32 s63, s0, s1
	v_cmp_gt_i32_e64 s0, s9, v43
	s_and_b32 s1, s64, vcc_lo
	v_cmp_lt_i32_e32 vcc_lo, -1, v45
	v_add_nc_u32_e32 v24, v59, v28
	v_add_nc_u32_e32 v26, v4, v32
	s_wait_alu 0xfffe
	s_and_b32 s64, s1, s0
	v_add_nc_u32_e32 v28, v57, v32
	s_and_b32 s1, s65, vcc_lo
	v_cmp_lt_i32_e32 vcc_lo, -1, v47
	v_add_nc_u32_e32 v30, v59, v32
	v_add_nc_u32_e32 v32, v4, v6
	;; [unrolled: 1-line block ×3, first 2 shown]
	v_mul_lo_u32 v42, v36, s11
	v_add_nc_u32_e32 v36, v59, v6
	v_add_nc_u32_e32 v6, v39, v5
	;; [unrolled: 1-line block ×4, first 2 shown]
	s_wait_alu 0xfffe
	s_and_b32 s65, s1, s0
	v_cmp_lt_i32_e64 s1, -1, v48
	v_or_b32_e32 v52, v18, v43
	s_and_b32 s66, s66, vcc_lo
	v_cmp_lt_i32_e32 vcc_lo, -1, v49
	v_mul_lo_u32 v12, v7, s11
	v_mul_lo_u32 v6, v6, s11
	;; [unrolled: 1-line block ×4, first 2 shown]
	s_and_b32 s1, s67, s1
	v_add_nc_u32_e32 v14, v4, v19
	s_wait_alu 0xfffe
	s_and_b32 s67, s1, s0
	s_and_b32 s1, s68, vcc_lo
	v_cmp_lt_i32_e32 vcc_lo, -1, v52
	v_add_nc_u32_e32 v7, v4, v12
	v_add_nc_u32_e32 v10, v57, v12
	;; [unrolled: 1-line block ×14, first 2 shown]
	s_and_b32 s69, s69, vcc_lo
	v_add_nc_u32_e32 v56, v4, v5
	v_cmp_lt_i32_e32 vcc_lo, -1, v58
	v_add_nc_u32_e32 v58, v57, v5
	v_add_nc_u32_e32 v60, v59, v5
	v_or_b32_e32 v9, v27, v43
	v_ashrrev_i32_e32 v8, 31, v7
	v_ashrrev_i32_e32 v11, 31, v10
	;; [unrolled: 1-line block ×22, first 2 shown]
	s_wait_alu 0xfffe
	s_and_b32 s68, s1, s0
	v_cmp_lt_i32_e64 s1, -1, v53
	v_ashrrev_i32_e32 v53, 31, v52
	v_ashrrev_i32_e32 v55, 31, v54
	v_ashrrev_i32_e32 v57, 31, v56
	v_ashrrev_i32_e32 v59, 31, v58
	v_ashrrev_i32_e32 v61, 31, v60
	s_and_b32 s71, s71, vcc_lo
	v_cmp_lt_i32_e32 vcc_lo, -1, v9
	v_mul_lo_u32 v6, s48, v174
	v_mov_b32_e32 v4, 0
	v_lshlrev_b64_e32 v[8:9], 3, v[7:8]
	v_lshlrev_b64_e32 v[10:11], 3, v[10:11]
	;; [unrolled: 1-line block ×27, first 2 shown]
	v_dual_mov_b32 v5, 0 :: v_dual_add_nc_u32 v176, s35, v175
	s_and_b32 s1, s72, s1
	s_and_b32 s72, s70, vcc_lo
	s_and_b32 s66, s66, s0
	s_and_b32 s69, s69, s0
	s_wait_alu 0xfffe
	s_and_b32 s1, s1, s0
	s_and_b32 s70, s71, s0
	;; [unrolled: 1-line block ×3, first 2 shown]
	s_mov_b32 s71, 0
	s_branch .LBB12_7
.LBB12_6:                               ;   in Loop: Header=BB12_7 Depth=2
	s_wait_alu 0xfffe
	s_or_b32 exec_lo, exec_lo, s0
	s_wait_loadcnt 0x1a
	v_fma_f64 v[4:5], v[62:63], v[64:65], v[4:5]
	v_add_nc_u32_e32 v175, 1, v175
	v_add_co_u32 v2, s0, 0xd8, v2
	s_wait_alu 0xf1ff
	v_add_co_ci_u32_e64 v3, null, 0, v3, s0
	s_delay_alu instid0(VALU_DEP_3)
	v_cmp_ge_i32_e32 vcc_lo, v175, v176
	v_add_nc_u32_e32 v6, s27, v6
	s_or_b32 s71, vcc_lo, s71
	s_wait_loadcnt 0x19
	v_fma_f64 v[4:5], v[66:67], v[70:71], v[4:5]
	s_wait_loadcnt 0x18
	s_delay_alu instid0(VALU_DEP_1) | instskip(SKIP_1) | instid1(VALU_DEP_1)
	v_fma_f64 v[4:5], v[72:73], v[68:69], v[4:5]
	s_wait_loadcnt 0x17
	v_fma_f64 v[4:5], v[74:75], v[78:79], v[4:5]
	s_wait_loadcnt 0x16
	s_delay_alu instid0(VALU_DEP_1) | instskip(SKIP_1) | instid1(VALU_DEP_1)
	v_fma_f64 v[4:5], v[80:81], v[76:77], v[4:5]
	s_wait_loadcnt 0x15
	v_fma_f64 v[4:5], v[82:83], v[86:87], v[4:5]
	s_wait_loadcnt 0x14
	s_delay_alu instid0(VALU_DEP_1) | instskip(SKIP_1) | instid1(VALU_DEP_1)
	v_fma_f64 v[4:5], v[88:89], v[84:85], v[4:5]
	s_wait_loadcnt 0x13
	v_fma_f64 v[4:5], v[90:91], v[94:95], v[4:5]
	s_wait_loadcnt 0x12
	s_delay_alu instid0(VALU_DEP_1) | instskip(SKIP_1) | instid1(VALU_DEP_1)
	v_fma_f64 v[4:5], v[96:97], v[92:93], v[4:5]
	s_wait_loadcnt 0x11
	v_fma_f64 v[4:5], v[98:99], v[102:103], v[4:5]
	s_wait_loadcnt 0x10
	s_delay_alu instid0(VALU_DEP_1) | instskip(SKIP_1) | instid1(VALU_DEP_1)
	v_fma_f64 v[4:5], v[104:105], v[100:101], v[4:5]
	s_wait_loadcnt 0xf
	v_fma_f64 v[4:5], v[106:107], v[110:111], v[4:5]
	s_wait_loadcnt 0xe
	s_delay_alu instid0(VALU_DEP_1) | instskip(SKIP_1) | instid1(VALU_DEP_1)
	v_fma_f64 v[4:5], v[112:113], v[108:109], v[4:5]
	s_wait_loadcnt 0xd
	v_fma_f64 v[4:5], v[114:115], v[118:119], v[4:5]
	s_wait_loadcnt 0xc
	s_delay_alu instid0(VALU_DEP_1) | instskip(SKIP_1) | instid1(VALU_DEP_1)
	v_fma_f64 v[4:5], v[120:121], v[116:117], v[4:5]
	s_wait_loadcnt 0xb
	v_fma_f64 v[4:5], v[122:123], v[126:127], v[4:5]
	s_wait_loadcnt 0xa
	s_delay_alu instid0(VALU_DEP_1) | instskip(SKIP_1) | instid1(VALU_DEP_1)
	v_fma_f64 v[4:5], v[128:129], v[124:125], v[4:5]
	s_wait_loadcnt 0x9
	v_fma_f64 v[4:5], v[130:131], v[134:135], v[4:5]
	s_wait_loadcnt 0x8
	s_delay_alu instid0(VALU_DEP_1) | instskip(SKIP_1) | instid1(VALU_DEP_1)
	v_fma_f64 v[4:5], v[136:137], v[132:133], v[4:5]
	s_wait_loadcnt 0x7
	v_fma_f64 v[4:5], v[138:139], v[142:143], v[4:5]
	s_wait_loadcnt 0x6
	s_delay_alu instid0(VALU_DEP_1) | instskip(SKIP_1) | instid1(VALU_DEP_1)
	v_fma_f64 v[4:5], v[144:145], v[140:141], v[4:5]
	s_wait_loadcnt 0x5
	v_fma_f64 v[4:5], v[146:147], v[150:151], v[4:5]
	s_wait_loadcnt 0x4
	s_delay_alu instid0(VALU_DEP_1) | instskip(SKIP_1) | instid1(VALU_DEP_1)
	v_fma_f64 v[4:5], v[152:153], v[148:149], v[4:5]
	s_wait_loadcnt 0x3
	v_fma_f64 v[4:5], v[154:155], v[158:159], v[4:5]
	s_wait_loadcnt 0x2
	s_delay_alu instid0(VALU_DEP_1) | instskip(SKIP_1) | instid1(VALU_DEP_1)
	v_fma_f64 v[4:5], v[160:161], v[156:157], v[4:5]
	s_wait_loadcnt 0x1
	v_fma_f64 v[4:5], v[162:163], v[166:167], v[4:5]
	s_wait_loadcnt 0x0
	s_delay_alu instid0(VALU_DEP_1)
	v_fma_f64 v[4:5], v[168:169], v[164:165], v[4:5]
	s_and_not1_b32 exec_lo, exec_lo, s71
	s_cbranch_execz .LBB12_2
.LBB12_7:                               ;   Parent Loop BB12_4 Depth=1
                                        ; =>  This Inner Loop Header: Depth=2
	global_load_b64 v[62:63], v[2:3], off
	v_ashrrev_i32_e32 v7, 31, v6
	v_mov_b32_e32 v64, 0
	v_mov_b32_e32 v65, 0
	s_delay_alu instid0(VALU_DEP_3) | instskip(NEXT) | instid1(VALU_DEP_1)
	v_lshlrev_b64_e32 v[66:67], 3, v[6:7]
	v_add_co_u32 v7, vcc_lo, v177, v66
	s_wait_alu 0xfffd
	s_delay_alu instid0(VALU_DEP_2)
	v_add_co_ci_u32_e64 v179, null, v178, v67, vcc_lo
	s_and_saveexec_b32 s0, s49
	s_cbranch_execz .LBB12_9
; %bb.8:                                ;   in Loop: Header=BB12_7 Depth=2
	v_add_co_u32 v64, vcc_lo, v7, v8
	s_wait_alu 0xfffd
	v_add_co_ci_u32_e64 v65, null, v179, v9, vcc_lo
	global_load_b64 v[64:65], v[64:65], off
.LBB12_9:                               ;   in Loop: Header=BB12_7 Depth=2
	s_wait_alu 0xfffe
	s_or_b32 exec_lo, exec_lo, s0
	global_load_b64 v[66:67], v[2:3], off offset:8
	v_mov_b32_e32 v68, 0
	v_dual_mov_b32 v69, 0 :: v_dual_mov_b32 v70, 0
	v_mov_b32_e32 v71, 0
	s_and_saveexec_b32 s0, s50
	s_cbranch_execz .LBB12_11
; %bb.10:                               ;   in Loop: Header=BB12_7 Depth=2
	v_add_co_u32 v70, vcc_lo, v7, v10
	s_wait_alu 0xfffd
	v_add_co_ci_u32_e64 v71, null, v179, v11, vcc_lo
	global_load_b64 v[70:71], v[70:71], off
.LBB12_11:                              ;   in Loop: Header=BB12_7 Depth=2
	s_wait_alu 0xfffe
	s_or_b32 exec_lo, exec_lo, s0
	global_load_b64 v[72:73], v[2:3], off offset:16
	s_and_saveexec_b32 s0, s51
	s_cbranch_execz .LBB12_13
; %bb.12:                               ;   in Loop: Header=BB12_7 Depth=2
	v_add_co_u32 v68, vcc_lo, v7, v12
	s_wait_alu 0xfffd
	v_add_co_ci_u32_e64 v69, null, v179, v13, vcc_lo
	global_load_b64 v[68:69], v[68:69], off
.LBB12_13:                              ;   in Loop: Header=BB12_7 Depth=2
	s_wait_alu 0xfffe
	s_or_b32 exec_lo, exec_lo, s0
	global_load_b64 v[74:75], v[2:3], off offset:24
	v_mov_b32_e32 v76, 0
	v_dual_mov_b32 v77, 0 :: v_dual_mov_b32 v78, 0
	v_mov_b32_e32 v79, 0
	s_and_saveexec_b32 s0, s52
	s_cbranch_execz .LBB12_15
; %bb.14:                               ;   in Loop: Header=BB12_7 Depth=2
	v_add_co_u32 v78, vcc_lo, v7, v14
	s_wait_alu 0xfffd
	v_add_co_ci_u32_e64 v79, null, v179, v15, vcc_lo
	global_load_b64 v[78:79], v[78:79], off
.LBB12_15:                              ;   in Loop: Header=BB12_7 Depth=2
	s_wait_alu 0xfffe
	s_or_b32 exec_lo, exec_lo, s0
	global_load_b64 v[80:81], v[2:3], off offset:32
	s_and_saveexec_b32 s0, s53
	s_cbranch_execz .LBB12_17
; %bb.16:                               ;   in Loop: Header=BB12_7 Depth=2
	v_add_co_u32 v76, vcc_lo, v7, v16
	s_wait_alu 0xfffd
	v_add_co_ci_u32_e64 v77, null, v179, v17, vcc_lo
	global_load_b64 v[76:77], v[76:77], off
.LBB12_17:                              ;   in Loop: Header=BB12_7 Depth=2
	s_wait_alu 0xfffe
	s_or_b32 exec_lo, exec_lo, s0
	global_load_b64 v[82:83], v[2:3], off offset:40
	v_mov_b32_e32 v84, 0
	v_dual_mov_b32 v85, 0 :: v_dual_mov_b32 v86, 0
	v_mov_b32_e32 v87, 0
	s_and_saveexec_b32 s0, s54
	s_cbranch_execz .LBB12_19
; %bb.18:                               ;   in Loop: Header=BB12_7 Depth=2
	v_add_co_u32 v86, vcc_lo, v7, v18
	s_wait_alu 0xfffd
	v_add_co_ci_u32_e64 v87, null, v179, v19, vcc_lo
	global_load_b64 v[86:87], v[86:87], off
.LBB12_19:                              ;   in Loop: Header=BB12_7 Depth=2
	s_wait_alu 0xfffe
	s_or_b32 exec_lo, exec_lo, s0
	global_load_b64 v[88:89], v[2:3], off offset:48
	s_and_saveexec_b32 s0, s4
	s_cbranch_execz .LBB12_21
; %bb.20:                               ;   in Loop: Header=BB12_7 Depth=2
	v_add_co_u32 v84, vcc_lo, v7, v20
	s_wait_alu 0xfffd
	v_add_co_ci_u32_e64 v85, null, v179, v21, vcc_lo
	global_load_b64 v[84:85], v[84:85], off
.LBB12_21:                              ;   in Loop: Header=BB12_7 Depth=2
	s_wait_alu 0xfffe
	s_or_b32 exec_lo, exec_lo, s0
	global_load_b64 v[90:91], v[2:3], off offset:56
	v_mov_b32_e32 v92, 0
	v_dual_mov_b32 v93, 0 :: v_dual_mov_b32 v94, 0
	v_mov_b32_e32 v95, 0
	s_and_saveexec_b32 s0, s2
	s_cbranch_execz .LBB12_23
; %bb.22:                               ;   in Loop: Header=BB12_7 Depth=2
	v_add_co_u32 v94, vcc_lo, v7, v22
	s_wait_alu 0xfffd
	v_add_co_ci_u32_e64 v95, null, v179, v23, vcc_lo
	global_load_b64 v[94:95], v[94:95], off
.LBB12_23:                              ;   in Loop: Header=BB12_7 Depth=2
	s_wait_alu 0xfffe
	s_or_b32 exec_lo, exec_lo, s0
	global_load_b64 v[96:97], v[2:3], off offset:64
	s_and_saveexec_b32 s0, s3
	s_cbranch_execz .LBB12_25
; %bb.24:                               ;   in Loop: Header=BB12_7 Depth=2
	v_add_co_u32 v92, vcc_lo, v7, v24
	s_wait_alu 0xfffd
	v_add_co_ci_u32_e64 v93, null, v179, v25, vcc_lo
	global_load_b64 v[92:93], v[92:93], off
.LBB12_25:                              ;   in Loop: Header=BB12_7 Depth=2
	s_wait_alu 0xfffe
	s_or_b32 exec_lo, exec_lo, s0
	global_load_b64 v[98:99], v[2:3], off offset:72
	v_mov_b32_e32 v100, 0
	v_dual_mov_b32 v101, 0 :: v_dual_mov_b32 v102, 0
	v_mov_b32_e32 v103, 0
	s_and_saveexec_b32 s0, s55
	s_cbranch_execz .LBB12_27
; %bb.26:                               ;   in Loop: Header=BB12_7 Depth=2
	v_add_co_u32 v102, vcc_lo, v7, v26
	s_wait_alu 0xfffd
	v_add_co_ci_u32_e64 v103, null, v179, v27, vcc_lo
	global_load_b64 v[102:103], v[102:103], off
.LBB12_27:                              ;   in Loop: Header=BB12_7 Depth=2
	s_wait_alu 0xfffe
	s_or_b32 exec_lo, exec_lo, s0
	global_load_b64 v[104:105], v[2:3], off offset:80
	s_and_saveexec_b32 s0, s56
	s_cbranch_execz .LBB12_29
; %bb.28:                               ;   in Loop: Header=BB12_7 Depth=2
	v_add_co_u32 v100, vcc_lo, v7, v28
	s_wait_alu 0xfffd
	v_add_co_ci_u32_e64 v101, null, v179, v29, vcc_lo
	global_load_b64 v[100:101], v[100:101], off
.LBB12_29:                              ;   in Loop: Header=BB12_7 Depth=2
	s_wait_alu 0xfffe
	s_or_b32 exec_lo, exec_lo, s0
	global_load_b64 v[106:107], v[2:3], off offset:88
	v_mov_b32_e32 v108, 0
	v_dual_mov_b32 v109, 0 :: v_dual_mov_b32 v110, 0
	v_mov_b32_e32 v111, 0
	s_and_saveexec_b32 s0, s57
	s_cbranch_execz .LBB12_31
; %bb.30:                               ;   in Loop: Header=BB12_7 Depth=2
	v_add_co_u32 v110, vcc_lo, v7, v30
	s_wait_alu 0xfffd
	v_add_co_ci_u32_e64 v111, null, v179, v31, vcc_lo
	global_load_b64 v[110:111], v[110:111], off
.LBB12_31:                              ;   in Loop: Header=BB12_7 Depth=2
	s_wait_alu 0xfffe
	s_or_b32 exec_lo, exec_lo, s0
	global_load_b64 v[112:113], v[2:3], off offset:96
	s_and_saveexec_b32 s0, s58
	s_cbranch_execz .LBB12_33
; %bb.32:                               ;   in Loop: Header=BB12_7 Depth=2
	v_add_co_u32 v108, vcc_lo, v7, v32
	s_wait_alu 0xfffd
	v_add_co_ci_u32_e64 v109, null, v179, v33, vcc_lo
	global_load_b64 v[108:109], v[108:109], off
.LBB12_33:                              ;   in Loop: Header=BB12_7 Depth=2
	s_wait_alu 0xfffe
	s_or_b32 exec_lo, exec_lo, s0
	global_load_b64 v[114:115], v[2:3], off offset:104
	v_mov_b32_e32 v116, 0
	v_dual_mov_b32 v117, 0 :: v_dual_mov_b32 v118, 0
	v_mov_b32_e32 v119, 0
	s_and_saveexec_b32 s0, s59
	s_cbranch_execz .LBB12_35
; %bb.34:                               ;   in Loop: Header=BB12_7 Depth=2
	v_add_co_u32 v118, vcc_lo, v7, v34
	s_wait_alu 0xfffd
	v_add_co_ci_u32_e64 v119, null, v179, v35, vcc_lo
	global_load_b64 v[118:119], v[118:119], off
.LBB12_35:                              ;   in Loop: Header=BB12_7 Depth=2
	s_wait_alu 0xfffe
	s_or_b32 exec_lo, exec_lo, s0
	global_load_b64 v[120:121], v[2:3], off offset:112
	s_and_saveexec_b32 s0, s60
	s_cbranch_execz .LBB12_37
; %bb.36:                               ;   in Loop: Header=BB12_7 Depth=2
	v_add_co_u32 v116, vcc_lo, v7, v36
	s_wait_alu 0xfffd
	v_add_co_ci_u32_e64 v117, null, v179, v37, vcc_lo
	global_load_b64 v[116:117], v[116:117], off
.LBB12_37:                              ;   in Loop: Header=BB12_7 Depth=2
	s_wait_alu 0xfffe
	s_or_b32 exec_lo, exec_lo, s0
	global_load_b64 v[122:123], v[2:3], off offset:120
	v_mov_b32_e32 v124, 0
	v_dual_mov_b32 v125, 0 :: v_dual_mov_b32 v126, 0
	v_mov_b32_e32 v127, 0
	s_and_saveexec_b32 s0, s61
	s_cbranch_execz .LBB12_39
; %bb.38:                               ;   in Loop: Header=BB12_7 Depth=2
	v_add_co_u32 v126, vcc_lo, v7, v38
	s_wait_alu 0xfffd
	v_add_co_ci_u32_e64 v127, null, v179, v39, vcc_lo
	global_load_b64 v[126:127], v[126:127], off
.LBB12_39:                              ;   in Loop: Header=BB12_7 Depth=2
	s_wait_alu 0xfffe
	s_or_b32 exec_lo, exec_lo, s0
	global_load_b64 v[128:129], v[2:3], off offset:128
	s_and_saveexec_b32 s0, s62
	s_cbranch_execz .LBB12_41
; %bb.40:                               ;   in Loop: Header=BB12_7 Depth=2
	v_add_co_u32 v124, vcc_lo, v7, v40
	s_wait_alu 0xfffd
	v_add_co_ci_u32_e64 v125, null, v179, v41, vcc_lo
	global_load_b64 v[124:125], v[124:125], off
.LBB12_41:                              ;   in Loop: Header=BB12_7 Depth=2
	s_wait_alu 0xfffe
	s_or_b32 exec_lo, exec_lo, s0
	global_load_b64 v[130:131], v[2:3], off offset:136
	v_mov_b32_e32 v132, 0
	v_dual_mov_b32 v133, 0 :: v_dual_mov_b32 v134, 0
	v_mov_b32_e32 v135, 0
	s_and_saveexec_b32 s0, s63
	s_cbranch_execz .LBB12_43
; %bb.42:                               ;   in Loop: Header=BB12_7 Depth=2
	v_add_co_u32 v134, vcc_lo, v7, v42
	s_wait_alu 0xfffd
	v_add_co_ci_u32_e64 v135, null, v179, v43, vcc_lo
	global_load_b64 v[134:135], v[134:135], off
.LBB12_43:                              ;   in Loop: Header=BB12_7 Depth=2
	s_wait_alu 0xfffe
	s_or_b32 exec_lo, exec_lo, s0
	global_load_b64 v[136:137], v[2:3], off offset:144
	s_and_saveexec_b32 s0, s64
	s_cbranch_execz .LBB12_45
; %bb.44:                               ;   in Loop: Header=BB12_7 Depth=2
	v_add_co_u32 v132, vcc_lo, v7, v44
	s_wait_alu 0xfffd
	v_add_co_ci_u32_e64 v133, null, v179, v45, vcc_lo
	global_load_b64 v[132:133], v[132:133], off
.LBB12_45:                              ;   in Loop: Header=BB12_7 Depth=2
	s_wait_alu 0xfffe
	s_or_b32 exec_lo, exec_lo, s0
	global_load_b64 v[138:139], v[2:3], off offset:152
	v_mov_b32_e32 v140, 0
	v_dual_mov_b32 v141, 0 :: v_dual_mov_b32 v142, 0
	v_mov_b32_e32 v143, 0
	s_and_saveexec_b32 s0, s65
	s_cbranch_execz .LBB12_47
; %bb.46:                               ;   in Loop: Header=BB12_7 Depth=2
	v_add_co_u32 v142, vcc_lo, v7, v46
	s_wait_alu 0xfffd
	v_add_co_ci_u32_e64 v143, null, v179, v47, vcc_lo
	global_load_b64 v[142:143], v[142:143], off
.LBB12_47:                              ;   in Loop: Header=BB12_7 Depth=2
	s_wait_alu 0xfffe
	s_or_b32 exec_lo, exec_lo, s0
	global_load_b64 v[144:145], v[2:3], off offset:160
	s_and_saveexec_b32 s0, s66
	s_cbranch_execz .LBB12_49
; %bb.48:                               ;   in Loop: Header=BB12_7 Depth=2
	v_add_co_u32 v140, vcc_lo, v7, v48
	s_wait_alu 0xfffd
	v_add_co_ci_u32_e64 v141, null, v179, v49, vcc_lo
	global_load_b64 v[140:141], v[140:141], off
.LBB12_49:                              ;   in Loop: Header=BB12_7 Depth=2
	s_wait_alu 0xfffe
	s_or_b32 exec_lo, exec_lo, s0
	global_load_b64 v[146:147], v[2:3], off offset:168
	v_mov_b32_e32 v148, 0
	v_dual_mov_b32 v149, 0 :: v_dual_mov_b32 v150, 0
	v_mov_b32_e32 v151, 0
	s_and_saveexec_b32 s0, s67
	s_cbranch_execz .LBB12_51
; %bb.50:                               ;   in Loop: Header=BB12_7 Depth=2
	v_add_co_u32 v150, vcc_lo, v7, v50
	s_wait_alu 0xfffd
	v_add_co_ci_u32_e64 v151, null, v179, v51, vcc_lo
	global_load_b64 v[150:151], v[150:151], off
.LBB12_51:                              ;   in Loop: Header=BB12_7 Depth=2
	s_wait_alu 0xfffe
	s_or_b32 exec_lo, exec_lo, s0
	global_load_b64 v[152:153], v[2:3], off offset:176
	s_and_saveexec_b32 s0, s68
	s_cbranch_execz .LBB12_53
; %bb.52:                               ;   in Loop: Header=BB12_7 Depth=2
	v_add_co_u32 v148, vcc_lo, v7, v52
	s_wait_alu 0xfffd
	v_add_co_ci_u32_e64 v149, null, v179, v53, vcc_lo
	global_load_b64 v[148:149], v[148:149], off
.LBB12_53:                              ;   in Loop: Header=BB12_7 Depth=2
	s_wait_alu 0xfffe
	s_or_b32 exec_lo, exec_lo, s0
	global_load_b64 v[154:155], v[2:3], off offset:184
	v_mov_b32_e32 v156, 0
	v_dual_mov_b32 v157, 0 :: v_dual_mov_b32 v158, 0
	v_mov_b32_e32 v159, 0
	s_and_saveexec_b32 s0, s69
	s_cbranch_execz .LBB12_55
; %bb.54:                               ;   in Loop: Header=BB12_7 Depth=2
	v_add_co_u32 v158, vcc_lo, v7, v54
	s_wait_alu 0xfffd
	v_add_co_ci_u32_e64 v159, null, v179, v55, vcc_lo
	global_load_b64 v[158:159], v[158:159], off
.LBB12_55:                              ;   in Loop: Header=BB12_7 Depth=2
	s_wait_alu 0xfffe
	s_or_b32 exec_lo, exec_lo, s0
	global_load_b64 v[160:161], v[2:3], off offset:192
	s_and_saveexec_b32 s0, s1
	s_cbranch_execz .LBB12_57
; %bb.56:                               ;   in Loop: Header=BB12_7 Depth=2
	v_add_co_u32 v156, vcc_lo, v7, v56
	s_wait_alu 0xfffd
	v_add_co_ci_u32_e64 v157, null, v179, v57, vcc_lo
	global_load_b64 v[156:157], v[156:157], off
.LBB12_57:                              ;   in Loop: Header=BB12_7 Depth=2
	s_wait_alu 0xfffe
	s_or_b32 exec_lo, exec_lo, s0
	global_load_b64 v[162:163], v[2:3], off offset:200
	v_mov_b32_e32 v164, 0
	v_dual_mov_b32 v165, 0 :: v_dual_mov_b32 v166, 0
	v_mov_b32_e32 v167, 0
	s_and_saveexec_b32 s0, s70
	s_cbranch_execz .LBB12_59
; %bb.58:                               ;   in Loop: Header=BB12_7 Depth=2
	v_add_co_u32 v166, vcc_lo, v7, v58
	s_wait_alu 0xfffd
	v_add_co_ci_u32_e64 v167, null, v179, v59, vcc_lo
	global_load_b64 v[166:167], v[166:167], off
.LBB12_59:                              ;   in Loop: Header=BB12_7 Depth=2
	s_wait_alu 0xfffe
	s_or_b32 exec_lo, exec_lo, s0
	global_load_b64 v[168:169], v[2:3], off offset:208
	s_and_saveexec_b32 s0, s72
	s_cbranch_execz .LBB12_6
; %bb.60:                               ;   in Loop: Header=BB12_7 Depth=2
	v_add_co_u32 v164, vcc_lo, v7, v60
	s_wait_alu 0xfffd
	v_add_co_ci_u32_e64 v165, null, v179, v61, vcc_lo
	global_load_b64 v[164:165], v[164:165], off
	s_branch .LBB12_6
.LBB12_61:                              ;   in Loop: Header=BB12_4 Depth=1
	v_mov_b32_e32 v4, 0
	v_mov_b32_e32 v5, 0
	s_branch .LBB12_3
.LBB12_62:
	s_nop 0
	s_sendmsg sendmsg(MSG_DEALLOC_VGPRS)
	s_endpgm
	.section	.rodata,"a",@progbits
	.p2align	6, 0x0
	.amdhsa_kernel _ZN2at6native12_GLOBAL__N_143conv_depthwise3d_cuda_backward_input_kernelIddLi3ELi3ELi3ELi1ELi1ELi1ELi1ELi1ELi1EEEvN5torch10headeronly6detail27GenericPackedTensorAccessorINS5_14TensorAccessorIN3c108ArrayRefIlEEKT_Lm4ENS4_16DefaultPtrTraitsEiEENS_6detail16IndexBoundsCheckILm5EiEESC_Lm5ESD_iEENS6_INS7_ISA_SB_Lm4ESD_iEESH_SB_Lm5ESD_iEESI_iiiiiiiii
		.amdhsa_group_segment_fixed_size 0
		.amdhsa_private_segment_fixed_size 0
		.amdhsa_kernarg_size 440
		.amdhsa_user_sgpr_count 2
		.amdhsa_user_sgpr_dispatch_ptr 0
		.amdhsa_user_sgpr_queue_ptr 0
		.amdhsa_user_sgpr_kernarg_segment_ptr 1
		.amdhsa_user_sgpr_dispatch_id 0
		.amdhsa_user_sgpr_private_segment_size 0
		.amdhsa_wavefront_size32 1
		.amdhsa_uses_dynamic_stack 0
		.amdhsa_enable_private_segment 0
		.amdhsa_system_sgpr_workgroup_id_x 1
		.amdhsa_system_sgpr_workgroup_id_y 0
		.amdhsa_system_sgpr_workgroup_id_z 0
		.amdhsa_system_sgpr_workgroup_info 0
		.amdhsa_system_vgpr_workitem_id 0
		.amdhsa_next_free_vgpr 180
		.amdhsa_next_free_sgpr 73
		.amdhsa_reserve_vcc 1
		.amdhsa_float_round_mode_32 0
		.amdhsa_float_round_mode_16_64 0
		.amdhsa_float_denorm_mode_32 3
		.amdhsa_float_denorm_mode_16_64 3
		.amdhsa_fp16_overflow 0
		.amdhsa_workgroup_processor_mode 1
		.amdhsa_memory_ordered 1
		.amdhsa_forward_progress 1
		.amdhsa_inst_pref_size 39
		.amdhsa_round_robin_scheduling 0
		.amdhsa_exception_fp_ieee_invalid_op 0
		.amdhsa_exception_fp_denorm_src 0
		.amdhsa_exception_fp_ieee_div_zero 0
		.amdhsa_exception_fp_ieee_overflow 0
		.amdhsa_exception_fp_ieee_underflow 0
		.amdhsa_exception_fp_ieee_inexact 0
		.amdhsa_exception_int_div_zero 0
	.end_amdhsa_kernel
	.section	.text._ZN2at6native12_GLOBAL__N_143conv_depthwise3d_cuda_backward_input_kernelIddLi3ELi3ELi3ELi1ELi1ELi1ELi1ELi1ELi1EEEvN5torch10headeronly6detail27GenericPackedTensorAccessorINS5_14TensorAccessorIN3c108ArrayRefIlEEKT_Lm4ENS4_16DefaultPtrTraitsEiEENS_6detail16IndexBoundsCheckILm5EiEESC_Lm5ESD_iEENS6_INS7_ISA_SB_Lm4ESD_iEESH_SB_Lm5ESD_iEESI_iiiiiiiii,"axG",@progbits,_ZN2at6native12_GLOBAL__N_143conv_depthwise3d_cuda_backward_input_kernelIddLi3ELi3ELi3ELi1ELi1ELi1ELi1ELi1ELi1EEEvN5torch10headeronly6detail27GenericPackedTensorAccessorINS5_14TensorAccessorIN3c108ArrayRefIlEEKT_Lm4ENS4_16DefaultPtrTraitsEiEENS_6detail16IndexBoundsCheckILm5EiEESC_Lm5ESD_iEENS6_INS7_ISA_SB_Lm4ESD_iEESH_SB_Lm5ESD_iEESI_iiiiiiiii,comdat
.Lfunc_end12:
	.size	_ZN2at6native12_GLOBAL__N_143conv_depthwise3d_cuda_backward_input_kernelIddLi3ELi3ELi3ELi1ELi1ELi1ELi1ELi1ELi1EEEvN5torch10headeronly6detail27GenericPackedTensorAccessorINS5_14TensorAccessorIN3c108ArrayRefIlEEKT_Lm4ENS4_16DefaultPtrTraitsEiEENS_6detail16IndexBoundsCheckILm5EiEESC_Lm5ESD_iEENS6_INS7_ISA_SB_Lm4ESD_iEESH_SB_Lm5ESD_iEESI_iiiiiiiii, .Lfunc_end12-_ZN2at6native12_GLOBAL__N_143conv_depthwise3d_cuda_backward_input_kernelIddLi3ELi3ELi3ELi1ELi1ELi1ELi1ELi1ELi1EEEvN5torch10headeronly6detail27GenericPackedTensorAccessorINS5_14TensorAccessorIN3c108ArrayRefIlEEKT_Lm4ENS4_16DefaultPtrTraitsEiEENS_6detail16IndexBoundsCheckILm5EiEESC_Lm5ESD_iEENS6_INS7_ISA_SB_Lm4ESD_iEESH_SB_Lm5ESD_iEESI_iiiiiiiii
                                        ; -- End function
	.set _ZN2at6native12_GLOBAL__N_143conv_depthwise3d_cuda_backward_input_kernelIddLi3ELi3ELi3ELi1ELi1ELi1ELi1ELi1ELi1EEEvN5torch10headeronly6detail27GenericPackedTensorAccessorINS5_14TensorAccessorIN3c108ArrayRefIlEEKT_Lm4ENS4_16DefaultPtrTraitsEiEENS_6detail16IndexBoundsCheckILm5EiEESC_Lm5ESD_iEENS6_INS7_ISA_SB_Lm4ESD_iEESH_SB_Lm5ESD_iEESI_iiiiiiiii.num_vgpr, 180
	.set _ZN2at6native12_GLOBAL__N_143conv_depthwise3d_cuda_backward_input_kernelIddLi3ELi3ELi3ELi1ELi1ELi1ELi1ELi1ELi1EEEvN5torch10headeronly6detail27GenericPackedTensorAccessorINS5_14TensorAccessorIN3c108ArrayRefIlEEKT_Lm4ENS4_16DefaultPtrTraitsEiEENS_6detail16IndexBoundsCheckILm5EiEESC_Lm5ESD_iEENS6_INS7_ISA_SB_Lm4ESD_iEESH_SB_Lm5ESD_iEESI_iiiiiiiii.num_agpr, 0
	.set _ZN2at6native12_GLOBAL__N_143conv_depthwise3d_cuda_backward_input_kernelIddLi3ELi3ELi3ELi1ELi1ELi1ELi1ELi1ELi1EEEvN5torch10headeronly6detail27GenericPackedTensorAccessorINS5_14TensorAccessorIN3c108ArrayRefIlEEKT_Lm4ENS4_16DefaultPtrTraitsEiEENS_6detail16IndexBoundsCheckILm5EiEESC_Lm5ESD_iEENS6_INS7_ISA_SB_Lm4ESD_iEESH_SB_Lm5ESD_iEESI_iiiiiiiii.numbered_sgpr, 73
	.set _ZN2at6native12_GLOBAL__N_143conv_depthwise3d_cuda_backward_input_kernelIddLi3ELi3ELi3ELi1ELi1ELi1ELi1ELi1ELi1EEEvN5torch10headeronly6detail27GenericPackedTensorAccessorINS5_14TensorAccessorIN3c108ArrayRefIlEEKT_Lm4ENS4_16DefaultPtrTraitsEiEENS_6detail16IndexBoundsCheckILm5EiEESC_Lm5ESD_iEENS6_INS7_ISA_SB_Lm4ESD_iEESH_SB_Lm5ESD_iEESI_iiiiiiiii.num_named_barrier, 0
	.set _ZN2at6native12_GLOBAL__N_143conv_depthwise3d_cuda_backward_input_kernelIddLi3ELi3ELi3ELi1ELi1ELi1ELi1ELi1ELi1EEEvN5torch10headeronly6detail27GenericPackedTensorAccessorINS5_14TensorAccessorIN3c108ArrayRefIlEEKT_Lm4ENS4_16DefaultPtrTraitsEiEENS_6detail16IndexBoundsCheckILm5EiEESC_Lm5ESD_iEENS6_INS7_ISA_SB_Lm4ESD_iEESH_SB_Lm5ESD_iEESI_iiiiiiiii.private_seg_size, 0
	.set _ZN2at6native12_GLOBAL__N_143conv_depthwise3d_cuda_backward_input_kernelIddLi3ELi3ELi3ELi1ELi1ELi1ELi1ELi1ELi1EEEvN5torch10headeronly6detail27GenericPackedTensorAccessorINS5_14TensorAccessorIN3c108ArrayRefIlEEKT_Lm4ENS4_16DefaultPtrTraitsEiEENS_6detail16IndexBoundsCheckILm5EiEESC_Lm5ESD_iEENS6_INS7_ISA_SB_Lm4ESD_iEESH_SB_Lm5ESD_iEESI_iiiiiiiii.uses_vcc, 1
	.set _ZN2at6native12_GLOBAL__N_143conv_depthwise3d_cuda_backward_input_kernelIddLi3ELi3ELi3ELi1ELi1ELi1ELi1ELi1ELi1EEEvN5torch10headeronly6detail27GenericPackedTensorAccessorINS5_14TensorAccessorIN3c108ArrayRefIlEEKT_Lm4ENS4_16DefaultPtrTraitsEiEENS_6detail16IndexBoundsCheckILm5EiEESC_Lm5ESD_iEENS6_INS7_ISA_SB_Lm4ESD_iEESH_SB_Lm5ESD_iEESI_iiiiiiiii.uses_flat_scratch, 0
	.set _ZN2at6native12_GLOBAL__N_143conv_depthwise3d_cuda_backward_input_kernelIddLi3ELi3ELi3ELi1ELi1ELi1ELi1ELi1ELi1EEEvN5torch10headeronly6detail27GenericPackedTensorAccessorINS5_14TensorAccessorIN3c108ArrayRefIlEEKT_Lm4ENS4_16DefaultPtrTraitsEiEENS_6detail16IndexBoundsCheckILm5EiEESC_Lm5ESD_iEENS6_INS7_ISA_SB_Lm4ESD_iEESH_SB_Lm5ESD_iEESI_iiiiiiiii.has_dyn_sized_stack, 0
	.set _ZN2at6native12_GLOBAL__N_143conv_depthwise3d_cuda_backward_input_kernelIddLi3ELi3ELi3ELi1ELi1ELi1ELi1ELi1ELi1EEEvN5torch10headeronly6detail27GenericPackedTensorAccessorINS5_14TensorAccessorIN3c108ArrayRefIlEEKT_Lm4ENS4_16DefaultPtrTraitsEiEENS_6detail16IndexBoundsCheckILm5EiEESC_Lm5ESD_iEENS6_INS7_ISA_SB_Lm4ESD_iEESH_SB_Lm5ESD_iEESI_iiiiiiiii.has_recursion, 0
	.set _ZN2at6native12_GLOBAL__N_143conv_depthwise3d_cuda_backward_input_kernelIddLi3ELi3ELi3ELi1ELi1ELi1ELi1ELi1ELi1EEEvN5torch10headeronly6detail27GenericPackedTensorAccessorINS5_14TensorAccessorIN3c108ArrayRefIlEEKT_Lm4ENS4_16DefaultPtrTraitsEiEENS_6detail16IndexBoundsCheckILm5EiEESC_Lm5ESD_iEENS6_INS7_ISA_SB_Lm4ESD_iEESH_SB_Lm5ESD_iEESI_iiiiiiiii.has_indirect_call, 0
	.section	.AMDGPU.csdata,"",@progbits
; Kernel info:
; codeLenInByte = 4940
; TotalNumSgprs: 75
; NumVgprs: 180
; ScratchSize: 0
; MemoryBound: 0
; FloatMode: 240
; IeeeMode: 1
; LDSByteSize: 0 bytes/workgroup (compile time only)
; SGPRBlocks: 0
; VGPRBlocks: 22
; NumSGPRsForWavesPerEU: 75
; NumVGPRsForWavesPerEU: 180
; Occupancy: 8
; WaveLimiterHint : 0
; COMPUTE_PGM_RSRC2:SCRATCH_EN: 0
; COMPUTE_PGM_RSRC2:USER_SGPR: 2
; COMPUTE_PGM_RSRC2:TRAP_HANDLER: 0
; COMPUTE_PGM_RSRC2:TGID_X_EN: 1
; COMPUTE_PGM_RSRC2:TGID_Y_EN: 0
; COMPUTE_PGM_RSRC2:TGID_Z_EN: 0
; COMPUTE_PGM_RSRC2:TIDIG_COMP_CNT: 0
	.section	.text._ZN2at6native12_GLOBAL__N_143conv_depthwise3d_cuda_backward_input_kernelIddLi3ELi3ELi3ELi1ELi1ELi1ELin1ELin1ELin1EEEvN5torch10headeronly6detail27GenericPackedTensorAccessorINS5_14TensorAccessorIN3c108ArrayRefIlEEKT_Lm4ENS4_16DefaultPtrTraitsEiEENS_6detail16IndexBoundsCheckILm5EiEESC_Lm5ESD_iEENS6_INS7_ISA_SB_Lm4ESD_iEESH_SB_Lm5ESD_iEESI_iiiiiiiii,"axG",@progbits,_ZN2at6native12_GLOBAL__N_143conv_depthwise3d_cuda_backward_input_kernelIddLi3ELi3ELi3ELi1ELi1ELi1ELin1ELin1ELin1EEEvN5torch10headeronly6detail27GenericPackedTensorAccessorINS5_14TensorAccessorIN3c108ArrayRefIlEEKT_Lm4ENS4_16DefaultPtrTraitsEiEENS_6detail16IndexBoundsCheckILm5EiEESC_Lm5ESD_iEENS6_INS7_ISA_SB_Lm4ESD_iEESH_SB_Lm5ESD_iEESI_iiiiiiiii,comdat
	.globl	_ZN2at6native12_GLOBAL__N_143conv_depthwise3d_cuda_backward_input_kernelIddLi3ELi3ELi3ELi1ELi1ELi1ELin1ELin1ELin1EEEvN5torch10headeronly6detail27GenericPackedTensorAccessorINS5_14TensorAccessorIN3c108ArrayRefIlEEKT_Lm4ENS4_16DefaultPtrTraitsEiEENS_6detail16IndexBoundsCheckILm5EiEESC_Lm5ESD_iEENS6_INS7_ISA_SB_Lm4ESD_iEESH_SB_Lm5ESD_iEESI_iiiiiiiii ; -- Begin function _ZN2at6native12_GLOBAL__N_143conv_depthwise3d_cuda_backward_input_kernelIddLi3ELi3ELi3ELi1ELi1ELi1ELin1ELin1ELin1EEEvN5torch10headeronly6detail27GenericPackedTensorAccessorINS5_14TensorAccessorIN3c108ArrayRefIlEEKT_Lm4ENS4_16DefaultPtrTraitsEiEENS_6detail16IndexBoundsCheckILm5EiEESC_Lm5ESD_iEENS6_INS7_ISA_SB_Lm4ESD_iEESH_SB_Lm5ESD_iEESI_iiiiiiiii
	.p2align	8
	.type	_ZN2at6native12_GLOBAL__N_143conv_depthwise3d_cuda_backward_input_kernelIddLi3ELi3ELi3ELi1ELi1ELi1ELin1ELin1ELin1EEEvN5torch10headeronly6detail27GenericPackedTensorAccessorINS5_14TensorAccessorIN3c108ArrayRefIlEEKT_Lm4ENS4_16DefaultPtrTraitsEiEENS_6detail16IndexBoundsCheckILm5EiEESC_Lm5ESD_iEENS6_INS7_ISA_SB_Lm4ESD_iEESH_SB_Lm5ESD_iEESI_iiiiiiiii,@function
_ZN2at6native12_GLOBAL__N_143conv_depthwise3d_cuda_backward_input_kernelIddLi3ELi3ELi3ELi1ELi1ELi1ELin1ELin1ELin1EEEvN5torch10headeronly6detail27GenericPackedTensorAccessorINS5_14TensorAccessorIN3c108ArrayRefIlEEKT_Lm4ENS4_16DefaultPtrTraitsEiEENS_6detail16IndexBoundsCheckILm5EiEESC_Lm5ESD_iEENS6_INS7_ISA_SB_Lm4ESD_iEESH_SB_Lm5ESD_iEESI_iiiiiiiii: ; @_ZN2at6native12_GLOBAL__N_143conv_depthwise3d_cuda_backward_input_kernelIddLi3ELi3ELi3ELi1ELi1ELi1ELin1ELin1ELin1EEEvN5torch10headeronly6detail27GenericPackedTensorAccessorINS5_14TensorAccessorIN3c108ArrayRefIlEEKT_Lm4ENS4_16DefaultPtrTraitsEiEENS_6detail16IndexBoundsCheckILm5EiEESC_Lm5ESD_iEENS6_INS7_ISA_SB_Lm4ESD_iEESH_SB_Lm5ESD_iEESI_iiiiiiiii
; %bb.0:
	s_clause 0x2
	s_load_b128 s[44:47], s[0:1], 0x38
	s_load_b32 s2, s[0:1], 0xc4
	s_load_b64 s[60:61], s[0:1], 0x48
	v_mov_b32_e32 v1, 0
                                        ; implicit-def: $vgpr180 : SGPR spill to VGPR lane
	s_wait_kmcnt 0x0
	s_abs_i32 s76, s45
	s_and_b32 s2, s2, 0xffff
	s_cvt_f32_u32 s3, s76
	v_mad_co_u64_u32 v[0:1], null, s2, ttmp9, v[0:1]
	s_mul_i32 s4, s61, s44
	s_delay_alu instid0(SALU_CYCLE_1) | instskip(SKIP_4) | instid1(TRANS32_DEP_1)
	v_rcp_iflag_f32_e32 v2, s3
	s_ashr_i32 s5, s4, 31
	v_writelane_b32 v180, s4, 0
	v_cmp_gt_i64_e32 vcc_lo, s[4:5], v[0:1]
	v_writelane_b32 v180, s5, 1
	v_readfirstlane_b32 s3, v2
	s_and_saveexec_b32 s4, vcc_lo
	s_cbranch_execz .LBB13_62
; %bb.1:
	s_clause 0x1
	s_load_b128 s[48:51], s[0:1], 0xc
	s_load_b64 s[66:67], s[0:1], 0x0
	s_mul_f32 s3, s3, 0x4f7ffffe
	s_sub_co_i32 s8, 0, s76
	s_add_nc_u64 s[6:7], s[0:1], 0xb8
	s_mov_b32 s65, 0
	s_wait_alu 0xfffe
	s_cvt_u32_f32 s3, s3
	s_mov_b32 s5, s65
	s_ashr_i32 s9, s45, 31
	s_wait_alu 0xfffe
	s_mul_i32 s4, s8, s3
	v_writelane_b32 v180, s9, 2
	s_wait_alu 0xfffe
	s_mul_hi_u32 s4, s3, s4
	s_wait_alu 0xfffe
	s_add_co_i32 s4, s3, s4
	s_load_b64 s[68:69], s[0:1], 0xa0
	s_load_b32 s3, s[6:7], 0x0
	s_clause 0x5
	s_load_b128 s[52:55], s[0:1], 0x90
	s_load_b32 s10, s[0:1], 0x7c
	s_load_b64 s[70:71], s[0:1], 0x1c
	s_load_b64 s[72:73], s[0:1], 0x30
	;; [unrolled: 1-line block ×3, first 2 shown]
	s_load_b128 s[56:59], s[0:1], 0x50
	s_wait_kmcnt 0x0
	s_abs_i32 s64, s48
	s_delay_alu instid0(SALU_CYCLE_1)
	s_mul_u64 s[4:5], s[64:65], s[4:5]
	s_ashr_i32 s4, s48, 31
	s_wait_alu 0xfffe
	s_mul_i32 s6, s5, s76
	s_xor_b32 s4, s4, s9
	s_sub_co_i32 s6, s64, s6
	s_add_co_i32 s7, s5, 1
	s_sub_co_i32 s9, s6, s76
	s_cmp_ge_u32 s6, s76
	s_cselect_b32 s5, s7, s5
	s_wait_alu 0xfffe
	s_cselect_b32 s6, s9, s6
	s_add_co_i32 s7, s5, 1
	s_cmp_ge_u32 s6, s76
	s_mul_i32 s1, s3, s2
	v_writelane_b32 v180, s10, 3
	s_cselect_b32 s5, s7, s5
	v_readfirstlane_b32 s6, v2
	s_wait_alu 0xfffe
	s_xor_b32 s5, s5, s4
	s_wait_alu 0xfffe
	s_sub_co_i32 s64, s5, s4
	v_writelane_b32 v180, s1, 4
	s_cmp_gt_i32 s64, 0
	s_mul_f32 s0, s6, 0x4f7ffffe
	s_cselect_b32 s1, -1, 0
	s_abs_i32 s81, s60
	s_wait_alu 0xfffe
	v_writelane_b32 v180, s1, 5
	s_ashr_i32 s1, s60, 31
	s_abs_i32 s83, s47
	s_abs_i32 s85, s46
	s_cvt_f32_u32 s2, s83
	s_wait_alu 0xfffe
	v_writelane_b32 v180, s1, 6
	s_ashr_i32 s1, s47, 31
	s_abs_i32 s86, s52
	v_rcp_iflag_f32_e32 v3, s2
	s_cvt_f32_u32 s3, s85
	s_wait_alu 0xfffe
	v_writelane_b32 v180, s1, 7
	s_ashr_i32 s1, s46, 31
	s_sub_co_i32 s2, 0, s81
	v_rcp_iflag_f32_e32 v4, s3
	s_abs_i32 s87, s53
	s_wait_alu 0xfffe
	v_writelane_b32 v180, s1, 8
	s_cvt_f32_u32 s1, s81
	s_sub_co_i32 s3, 0, s83
	v_readfirstlane_b32 s5, v3
	s_abs_i32 s88, s54
	s_wait_alu 0xfffe
	v_rcp_iflag_f32_e32 v2, s1
	s_cvt_f32_u32 s1, s86
	s_cvt_f32_u32 s7, s87
	v_readfirstlane_b32 s6, v4
	s_mul_f32 s5, s5, 0x4f7ffffe
	s_wait_alu 0xfffe
	v_rcp_iflag_f32_e32 v5, s1
	s_cvt_f32_u32 s9, s88
	s_sub_co_i32 s4, 0, s85
	s_cvt_u32_f32 s5, s5
	s_mul_f32 s6, s6, 0x4f7ffffe
	v_readfirstlane_b32 s1, v2
	v_rcp_iflag_f32_e32 v2, s7
	s_wait_alu 0xfffe
	s_mul_i32 s3, s3, s5
	s_cvt_u32_f32 s6, s6
	s_wait_alu 0xfffe
	s_mul_hi_u32 s3, s5, s3
	s_mul_f32 s1, s1, 0x4f7ffffe
	v_readfirstlane_b32 s7, v5
	s_mul_i32 s4, s4, s6
	s_cvt_u32_f32 s0, s0
	s_wait_alu 0xfffe
	s_cvt_u32_f32 s1, s1
	v_rcp_iflag_f32_e32 v3, s9
	s_ashr_i32 s93, s52, 31
	s_mul_i32 s8, s8, s0
	s_wait_alu 0xfffe
	s_mul_i32 s2, s2, s1
	s_ashr_i32 s95, s53, 31
	s_wait_alu 0xfffe
	s_mul_hi_u32 s2, s1, s2
	s_ashr_i32 s97, s54, 31
	s_wait_alu 0xfffe
	s_add_co_i32 s1, s1, s2
	s_mul_f32 s2, s7, 0x4f7ffffe
	s_wait_alu 0xfffe
	v_writelane_b32 v180, s1, 9
	s_add_co_i32 s1, s5, s3
	s_sub_co_i32 s3, 0, s86
	s_cvt_u32_f32 s2, s2
	s_wait_alu 0xfffe
	v_writelane_b32 v180, s1, 10
	s_mul_hi_u32 s1, s6, s4
	v_readfirstlane_b32 s4, v2
	s_wait_alu 0xfffe
	s_add_co_i32 s1, s6, s1
	s_mul_i32 s3, s3, s2
	s_wait_alu 0xfffe
	v_writelane_b32 v180, s1, 11
	s_mul_hi_u32 s1, s0, s8
	s_wait_alu 0xfffe
	s_add_co_i32 s0, s0, s1
	s_mul_hi_u32 s1, s2, s3
	s_wait_alu 0xfffe
	v_writelane_b32 v180, s0, 12
	v_readfirstlane_b32 s0, v3
	s_mul_f32 s3, s4, 0x4f7ffffe
	s_add_co_i32 s94, s2, s1
	s_sub_co_i32 s2, 0, s87
	s_mul_f32 s0, s0, 0x4f7ffffe
	s_wait_alu 0xfffe
	s_cvt_u32_f32 s1, s3
	s_sub_co_i32 s3, 0, s88
	s_cvt_u32_f32 s0, s0
	s_wait_alu 0xfffe
	s_mul_i32 s2, s2, s1
	s_wait_alu 0xfffe
	s_mul_hi_u32 s2, s1, s2
	s_mul_i32 s3, s3, s0
	s_wait_alu 0xfffe
	s_add_co_i32 s96, s1, s2
	s_mul_hi_u32 s1, s0, s3
	s_wait_alu 0xfffe
	s_add_co_i32 s98, s0, s1
	s_branch .LBB13_4
.LBB13_2:                               ;   in Loop: Header=BB13_4 Depth=1
	s_or_b32 exec_lo, exec_lo, s99
.LBB13_3:                               ;   in Loop: Header=BB13_4 Depth=1
	v_mul_lo_u32 v2, v173, s61
	v_mul_lo_u32 v4, s56, v174
	;; [unrolled: 1-line block ×3, first 2 shown]
	v_readlane_b32 s0, v180, 4
	v_mul_lo_u32 v8, s58, v171
	v_mul_lo_u32 v10, s59, v170
	s_wait_alu 0xf1ff
	s_delay_alu instid0(VALU_DEP_3)
	v_add_co_u32 v0, vcc_lo, v0, s0
	v_ashrrev_i32_e32 v3, 31, v2
	v_ashrrev_i32_e32 v5, 31, v4
	;; [unrolled: 1-line block ×3, first 2 shown]
	s_wait_alu 0xfffd
	v_add_co_ci_u32_e64 v1, null, 0, v1, vcc_lo
	v_lshlrev_b64_e32 v[2:3], 3, v[2:3]
	v_lshlrev_b64_e32 v[4:5], 3, v[4:5]
	v_ashrrev_i32_e32 v9, 31, v8
	v_ashrrev_i32_e32 v11, 31, v10
	v_readlane_b32 s0, v180, 0
	v_readlane_b32 s1, v180, 1
	v_add_co_u32 v12, vcc_lo, s72, v2
	s_wait_alu 0xfffd
	v_add_co_ci_u32_e64 v13, null, s73, v3, vcc_lo
	v_lshlrev_b64_e32 v[2:3], 3, v[6:7]
	s_delay_alu instid0(VALU_DEP_3) | instskip(SKIP_1) | instid1(VALU_DEP_3)
	v_add_co_u32 v6, vcc_lo, v12, v4
	s_wait_alu 0xfffd
	v_add_co_ci_u32_e64 v7, null, v13, v5, vcc_lo
	v_lshlrev_b64_e32 v[4:5], 3, v[8:9]
	s_delay_alu instid0(VALU_DEP_3) | instskip(SKIP_1) | instid1(VALU_DEP_3)
	v_add_co_u32 v6, vcc_lo, v6, v2
	s_wait_alu 0xfffd
	v_add_co_ci_u32_e64 v7, null, v7, v3, vcc_lo
	v_lshlrev_b64_e32 v[2:3], 3, v[10:11]
	s_delay_alu instid0(VALU_DEP_3) | instskip(SKIP_1) | instid1(VALU_DEP_3)
	v_add_co_u32 v4, vcc_lo, v6, v4
	s_wait_alu 0xfffd
	v_add_co_ci_u32_e64 v5, null, v7, v5, vcc_lo
	s_wait_alu 0xf1ff
	v_cmp_le_i64_e32 vcc_lo, s[0:1], v[0:1]
	v_add_co_u32 v2, s0, v4, v2
	s_wait_alu 0xf1ff
	v_add_co_ci_u32_e64 v3, null, v5, v3, s0
	s_or_b32 s65, vcc_lo, s65
	global_store_b64 v[2:3], v[60:61], off
	s_wait_alu 0xfffe
	s_and_not1_b32 exec_lo, exec_lo, s65
	s_cbranch_execz .LBB13_62
.LBB13_4:                               ; =>This Loop Header: Depth=1
                                        ;     Child Loop BB13_7 Depth 2
	v_sub_nc_u32_e32 v2, 0, v0
	v_readlane_b32 s0, v180, 9
	s_delay_alu instid0(VALU_DEP_2) | instskip(SKIP_1) | instid1(VALU_DEP_1)
	v_max_i32_e32 v2, v0, v2
	s_wait_alu 0xf1ff
	v_mul_hi_u32 v3, v2, s0
	v_readlane_b32 s0, v180, 6
	s_delay_alu instid0(VALU_DEP_2) | instskip(NEXT) | instid1(VALU_DEP_1)
	v_mul_lo_u32 v4, v3, s81
	v_sub_nc_u32_e32 v2, v2, v4
	v_add_nc_u32_e32 v4, 1, v3
	s_delay_alu instid0(VALU_DEP_2) | instskip(SKIP_2) | instid1(VALU_DEP_2)
	v_subrev_nc_u32_e32 v5, s81, v2
	v_cmp_le_u32_e32 vcc_lo, s81, v2
	s_wait_alu 0xfffd
	v_dual_cndmask_b32 v3, v3, v4 :: v_dual_cndmask_b32 v2, v2, v5
	v_ashrrev_i32_e32 v4, 31, v0
	s_delay_alu instid0(VALU_DEP_2) | instskip(NEXT) | instid1(VALU_DEP_3)
	v_add_nc_u32_e32 v5, 1, v3
	v_cmp_le_u32_e32 vcc_lo, s81, v2
	s_wait_alu 0xf1ff
	s_delay_alu instid0(VALU_DEP_3) | instskip(SKIP_3) | instid1(VALU_DEP_1)
	v_xor_b32_e32 v4, s0, v4
	v_readlane_b32 s0, v180, 10
	s_wait_alu 0xfffd
	v_cndmask_b32_e32 v2, v3, v5, vcc_lo
	v_xor_b32_e32 v2, v2, v4
	s_delay_alu instid0(VALU_DEP_1) | instskip(NEXT) | instid1(VALU_DEP_1)
	v_sub_nc_u32_e32 v2, v2, v4
	v_sub_nc_u32_e32 v3, 0, v2
	s_delay_alu instid0(VALU_DEP_1) | instskip(SKIP_1) | instid1(VALU_DEP_1)
	v_max_i32_e32 v3, v2, v3
	s_wait_alu 0xf1ff
	v_mul_hi_u32 v4, v3, s0
	v_readlane_b32 s0, v180, 7
	s_delay_alu instid0(VALU_DEP_2) | instskip(NEXT) | instid1(VALU_DEP_1)
	v_mul_lo_u32 v5, v4, s83
	v_sub_nc_u32_e32 v3, v3, v5
	v_add_nc_u32_e32 v5, 1, v4
	s_delay_alu instid0(VALU_DEP_2) | instskip(SKIP_2) | instid1(VALU_DEP_2)
	v_subrev_nc_u32_e32 v6, s83, v3
	v_cmp_le_u32_e32 vcc_lo, s83, v3
	s_wait_alu 0xfffd
	v_dual_cndmask_b32 v4, v4, v5 :: v_dual_cndmask_b32 v3, v3, v6
	v_ashrrev_i32_e32 v5, 31, v2
	s_delay_alu instid0(VALU_DEP_2) | instskip(NEXT) | instid1(VALU_DEP_3)
	v_add_nc_u32_e32 v6, 1, v4
	v_cmp_le_u32_e32 vcc_lo, s83, v3
	s_wait_alu 0xf1ff
	s_delay_alu instid0(VALU_DEP_3) | instskip(SKIP_3) | instid1(VALU_DEP_1)
	v_xor_b32_e32 v5, s0, v5
	v_readlane_b32 s0, v180, 11
	s_wait_alu 0xfffd
	v_cndmask_b32_e32 v3, v4, v6, vcc_lo
	v_xor_b32_e32 v3, v3, v5
	s_delay_alu instid0(VALU_DEP_1) | instskip(NEXT) | instid1(VALU_DEP_1)
	v_sub_nc_u32_e32 v3, v3, v5
	v_sub_nc_u32_e32 v4, 0, v3
	s_delay_alu instid0(VALU_DEP_1) | instskip(SKIP_1) | instid1(VALU_DEP_1)
	;; [unrolled: 28-line block ×3, first 2 shown]
	v_max_i32_e32 v5, v4, v5
	s_wait_alu 0xf1ff
	v_mul_hi_u32 v6, v5, s0
	v_readlane_b32 s0, v180, 2
	s_delay_alu instid0(VALU_DEP_2) | instskip(NEXT) | instid1(VALU_DEP_1)
	v_mul_lo_u32 v7, v6, s76
	v_sub_nc_u32_e32 v5, v5, v7
	v_add_nc_u32_e32 v7, 1, v6
	s_delay_alu instid0(VALU_DEP_2) | instskip(SKIP_2) | instid1(VALU_DEP_2)
	v_subrev_nc_u32_e32 v8, s76, v5
	v_cmp_le_u32_e32 vcc_lo, s76, v5
	s_wait_alu 0xfffd
	v_dual_cndmask_b32 v6, v6, v7 :: v_dual_cndmask_b32 v5, v5, v8
	v_ashrrev_i32_e32 v7, 31, v4
	s_delay_alu instid0(VALU_DEP_2) | instskip(NEXT) | instid1(VALU_DEP_3)
	v_add_nc_u32_e32 v8, 1, v6
	v_cmp_le_u32_e32 vcc_lo, s76, v5
	s_wait_alu 0xf1ff
	s_delay_alu instid0(VALU_DEP_3)
	v_xor_b32_e32 v7, s0, v7
	v_readlane_b32 s0, v180, 5
	s_wait_alu 0xfffd
	v_cndmask_b32_e32 v5, v6, v8, vcc_lo
	v_mul_lo_u32 v6, v3, s47
	s_and_not1_b32 vcc_lo, exec_lo, s0
	s_delay_alu instid0(VALU_DEP_2) | instskip(NEXT) | instid1(VALU_DEP_2)
	v_xor_b32_e32 v5, v5, v7
	v_sub_nc_u32_e32 v171, v2, v6
	s_delay_alu instid0(VALU_DEP_2) | instskip(SKIP_2) | instid1(VALU_DEP_3)
	v_sub_nc_u32_e32 v173, v5, v7
	v_mul_lo_u32 v5, v2, s60
	v_mul_lo_u32 v7, v4, s46
	v_mul_lo_u32 v8, v173, s45
	s_delay_alu instid0(VALU_DEP_3) | instskip(NEXT) | instid1(VALU_DEP_3)
	v_sub_nc_u32_e32 v170, v0, v5
	v_sub_nc_u32_e32 v172, v3, v7
	s_delay_alu instid0(VALU_DEP_3)
	v_sub_nc_u32_e32 v174, v4, v8
	s_wait_alu 0xfffe
	s_cbranch_vccnz .LBB13_61
; %bb.5:                                ;   in Loop: Header=BB13_4 Depth=1
	v_add_nc_u32_e32 v6, s69, v170
	v_add_nc_u32_e32 v15, s68, v171
	v_mul_lo_u32 v175, v174, s64
	v_readlane_b32 s0, v180, 3
	s_mov_b32 s99, 0
	v_sub_nc_u32_e32 v2, 0, v6
	v_sub_nc_u32_e32 v3, 1, v6
	s_delay_alu instid0(VALU_DEP_2) | instskip(SKIP_1) | instid1(VALU_DEP_2)
	v_max_i32_e32 v2, v6, v2
	v_add_nc_u32_e32 v178, s64, v175
	v_mul_hi_u32 v4, v2, s98
	s_delay_alu instid0(VALU_DEP_1) | instskip(NEXT) | instid1(VALU_DEP_1)
	v_mul_lo_u32 v8, v4, s88
	v_sub_nc_u32_e32 v8, v2, v8
	s_wait_alu 0xf1ff
	v_mul_lo_u32 v2, s0, v175
	s_delay_alu instid0(VALU_DEP_2) | instskip(SKIP_2) | instid1(VALU_DEP_1)
	v_cmp_le_u32_e32 vcc_lo, s88, v8
	v_add_nc_u32_e32 v13, 1, v4
	s_wait_alu 0xfffd
	v_dual_cndmask_b32 v4, v4, v13 :: v_dual_add_nc_u32 v7, -1, v6
	s_delay_alu instid0(VALU_DEP_1) | instskip(SKIP_1) | instid1(VALU_DEP_2)
	v_max_i32_e32 v3, v7, v3
	v_ashrrev_i32_e32 v14, 31, v7
	v_mul_hi_u32 v5, v3, s98
	s_delay_alu instid0(VALU_DEP_1) | instskip(NEXT) | instid1(VALU_DEP_1)
	v_mul_lo_u32 v9, v5, s88
	v_sub_nc_u32_e32 v3, v3, v9
	v_subrev_nc_u32_e32 v9, s88, v8
	s_delay_alu instid0(VALU_DEP_2) | instskip(NEXT) | instid1(VALU_DEP_2)
	v_subrev_nc_u32_e32 v13, s88, v3
	v_cndmask_b32_e32 v8, v8, v9, vcc_lo
	v_add_nc_u32_e32 v9, 1, v5
	v_cmp_le_u32_e32 vcc_lo, s88, v3
	s_wait_alu 0xfffd
	v_cndmask_b32_e32 v13, v3, v13, vcc_lo
	v_sub_nc_u32_e32 v12, 2, v6
	v_add_nc_u32_e32 v3, 1, v4
	v_cndmask_b32_e32 v5, v5, v9, vcc_lo
	v_cmp_le_u32_e32 vcc_lo, s88, v8
	v_add_nc_u32_e32 v11, -2, v6
	v_ashrrev_i32_e32 v10, 31, v6
	v_xor_b32_e32 v8, s97, v14
	v_add_nc_u32_e32 v14, 1, v5
	s_wait_alu 0xfffd
	v_cndmask_b32_e32 v4, v4, v3, vcc_lo
	v_max_i32_e32 v12, v11, v12
	v_xor_b32_e32 v10, s97, v10
	v_cmp_le_u32_e32 vcc_lo, s88, v13
	v_ashrrev_i32_e32 v3, 31, v2
	s_delay_alu instid0(VALU_DEP_4) | instskip(NEXT) | instid1(VALU_DEP_4)
	v_mul_hi_u32 v9, v12, s98
	v_xor_b32_e32 v4, v4, v10
	s_wait_alu 0xfffd
	v_cndmask_b32_e32 v5, v5, v14, vcc_lo
	v_lshlrev_b64_e32 v[2:3], 3, v[2:3]
	v_add_nc_u32_e32 v14, -1, v15
	v_sub_nc_u32_e32 v4, v4, v10
	s_delay_alu instid0(VALU_DEP_4) | instskip(SKIP_2) | instid1(VALU_DEP_4)
	v_xor_b32_e32 v5, v5, v8
	v_mul_lo_u32 v13, v9, s88
	v_add_co_u32 v2, vcc_lo, s74, v2
	v_mul_lo_u32 v10, v4, s54
	s_delay_alu instid0(VALU_DEP_4)
	v_sub_nc_u32_e32 v5, v5, v8
	v_sub_nc_u32_e32 v8, 1, v15
	s_wait_alu 0xfffd
	v_add_co_ci_u32_e64 v3, null, s75, v3, vcc_lo
	v_sub_nc_u32_e32 v12, v12, v13
	v_add_nc_u32_e32 v13, 1, v9
	v_max_i32_e32 v8, v14, v8
	v_cmp_eq_u32_e64 s5, v10, v6
	v_mul_lo_u32 v10, v5, s54
	v_cmp_le_u32_e32 vcc_lo, s88, v12
	v_subrev_nc_u32_e32 v6, s88, v12
	v_cmp_gt_i32_e64 s42, s51, v4
	v_cmp_gt_i32_e64 s43, s51, v5
	s_wait_alu 0xfffd
	v_cndmask_b32_e32 v9, v9, v13, vcc_lo
	v_mul_hi_u32 v13, v8, s96
	v_cndmask_b32_e32 v6, v12, v6, vcc_lo
	v_cmp_eq_u32_e64 s3, v10, v7
	v_ashrrev_i32_e32 v7, 31, v11
	v_add_nc_u32_e32 v10, 1, v9
	v_sub_nc_u32_e32 v12, 0, v15
	v_cmp_le_u32_e32 vcc_lo, s88, v6
	v_mul_lo_u32 v6, v13, s87
	v_xor_b32_e32 v7, s97, v7
	s_delay_alu instid0(VALU_DEP_4) | instskip(SKIP_2) | instid1(VALU_DEP_2)
	v_max_i32_e32 v12, v15, v12
	s_wait_alu 0xfffd
	v_cndmask_b32_e32 v9, v9, v10, vcc_lo
	v_mul_hi_u32 v10, v12, s96
	s_delay_alu instid0(VALU_DEP_2) | instskip(SKIP_1) | instid1(VALU_DEP_2)
	v_xor_b32_e32 v9, v9, v7
	v_sub_nc_u32_e32 v8, v8, v6
	v_sub_nc_u32_e32 v6, v9, v7
	s_delay_alu instid0(VALU_DEP_2) | instskip(SKIP_3) | instid1(VALU_DEP_3)
	v_subrev_nc_u32_e32 v9, s87, v8
	v_cmp_le_u32_e32 vcc_lo, s87, v8
	v_mul_lo_u32 v7, v10, s87
	s_wait_alu 0xfffd
	v_cndmask_b32_e32 v8, v8, v9, vcc_lo
	v_mul_lo_u32 v9, v6, s54
	s_delay_alu instid0(VALU_DEP_3) | instskip(NEXT) | instid1(VALU_DEP_3)
	v_sub_nc_u32_e32 v7, v12, v7
	v_cmp_le_u32_e64 s0, s87, v8
	v_ashrrev_i32_e32 v8, 31, v14
	s_delay_alu instid0(VALU_DEP_4) | instskip(SKIP_4) | instid1(VALU_DEP_3)
	v_cmp_eq_u32_e64 s7, v9, v11
	v_add_nc_u32_e32 v11, 1, v10
	v_add_nc_u32_e32 v12, 1, v13
	v_subrev_nc_u32_e32 v9, s87, v7
	v_xor_b32_e32 v8, s95, v8
	v_cndmask_b32_e32 v12, v13, v12, vcc_lo
	v_cmp_le_u32_e32 vcc_lo, s87, v7
	s_delay_alu instid0(VALU_DEP_2)
	v_add_nc_u32_e32 v13, 1, v12
	s_wait_alu 0xfffd
	v_cndmask_b32_e32 v7, v7, v9, vcc_lo
	v_cndmask_b32_e32 v9, v10, v11, vcc_lo
	v_add_nc_u32_e32 v10, -2, v15
	v_sub_nc_u32_e32 v11, 2, v15
	s_wait_alu 0xf1ff
	v_cndmask_b32_e64 v12, v12, v13, s0
	v_cmp_le_u32_e32 vcc_lo, s87, v7
	v_ashrrev_i32_e32 v7, 31, v15
	v_add_nc_u32_e32 v13, 1, v9
	v_max_i32_e32 v11, v10, v11
	v_xor_b32_e32 v12, v12, v8
	s_delay_alu instid0(VALU_DEP_4) | instskip(NEXT) | instid1(VALU_DEP_2)
	v_xor_b32_e32 v16, s95, v7
	v_sub_nc_u32_e32 v7, v12, v8
	s_delay_alu instid0(VALU_DEP_1)
	v_mul_lo_u32 v12, v7, s53
	v_cmp_gt_i32_e64 s35, s50, v7
	s_and_b32 s89, s42, s35
	s_and_b32 s90, s43, s35
	v_cmp_eq_u32_e64 s23, v12, v14
	s_wait_alu 0xfffd
	v_dual_cndmask_b32 v9, v9, v13 :: v_dual_add_nc_u32 v14, s55, v172
	v_mul_hi_u32 v13, v11, s96
	s_delay_alu instid0(VALU_DEP_2) | instskip(NEXT) | instid1(VALU_DEP_2)
	v_xor_b32_e32 v8, v9, v16
	v_mul_lo_u32 v9, v13, s87
	s_delay_alu instid0(VALU_DEP_2) | instskip(NEXT) | instid1(VALU_DEP_1)
	v_sub_nc_u32_e32 v8, v8, v16
	v_cmp_gt_i32_e64 s34, s50, v8
	s_delay_alu instid0(VALU_DEP_3) | instskip(SKIP_3) | instid1(VALU_DEP_2)
	v_sub_nc_u32_e32 v9, v11, v9
	v_mul_lo_u32 v11, v8, s53
	s_and_b32 s77, s42, s34
	s_and_b32 s82, s43, s34
	v_subrev_nc_u32_e32 v12, s87, v9
	v_cmp_le_u32_e32 vcc_lo, s87, v9
	s_delay_alu instid0(VALU_DEP_3) | instskip(SKIP_4) | instid1(VALU_DEP_3)
	v_cmp_eq_u32_e64 s20, v11, v15
	v_add_nc_u32_e32 v11, 1, v13
	s_wait_alu 0xfffd
	v_dual_cndmask_b32 v9, v9, v12 :: v_dual_add_nc_u32 v12, -1, v14
	v_sub_nc_u32_e32 v15, 1, v14
	v_cndmask_b32_e32 v11, v13, v11, vcc_lo
	s_delay_alu instid0(VALU_DEP_3) | instskip(NEXT) | instid1(VALU_DEP_3)
	v_cmp_le_u32_e32 vcc_lo, s87, v9
	v_max_i32_e32 v13, v12, v15
	s_delay_alu instid0(VALU_DEP_3) | instskip(NEXT) | instid1(VALU_DEP_2)
	v_add_nc_u32_e32 v15, 1, v11
	v_mul_hi_u32 v16, v13, s94
	s_wait_alu 0xfffd
	s_delay_alu instid0(VALU_DEP_2) | instskip(NEXT) | instid1(VALU_DEP_2)
	v_cndmask_b32_e32 v9, v11, v15, vcc_lo
	v_mul_lo_u32 v11, v16, s86
	s_delay_alu instid0(VALU_DEP_1) | instskip(SKIP_1) | instid1(VALU_DEP_2)
	v_sub_nc_u32_e32 v11, v13, v11
	v_ashrrev_i32_e32 v13, 31, v10
	v_cmp_le_u32_e32 vcc_lo, s86, v11
	s_delay_alu instid0(VALU_DEP_2) | instskip(NEXT) | instid1(VALU_DEP_1)
	v_xor_b32_e32 v13, s95, v13
	v_xor_b32_e32 v9, v9, v13
	s_delay_alu instid0(VALU_DEP_1) | instskip(SKIP_1) | instid1(VALU_DEP_2)
	v_sub_nc_u32_e32 v9, v9, v13
	v_subrev_nc_u32_e32 v13, s86, v11
	v_mul_lo_u32 v15, v9, s53
	s_wait_alu 0xfffd
	s_delay_alu instid0(VALU_DEP_2) | instskip(SKIP_2) | instid1(VALU_DEP_2)
	v_cndmask_b32_e32 v11, v11, v13, vcc_lo
	v_add_nc_u32_e32 v13, 1, v16
	v_cmp_gt_i32_e64 s37, s50, v9
	v_cndmask_b32_e32 v13, v16, v13, vcc_lo
	v_cmp_eq_u32_e64 s26, v15, v10
	v_sub_nc_u32_e32 v15, 0, v14
	v_cmp_le_u32_e32 vcc_lo, s86, v11
	v_ashrrev_i32_e32 v11, 31, v12
	v_add_nc_u32_e32 v10, 1, v13
	s_and_b32 s92, s42, s37
	v_max_i32_e32 v15, v14, v15
	s_and_b32 s62, s43, s37
	v_xor_b32_e32 v11, s93, v11
	s_wait_alu 0xfffd
	v_cndmask_b32_e32 v10, v13, v10, vcc_lo
	v_mul_hi_u32 v13, v15, s94
	s_delay_alu instid0(VALU_DEP_2) | instskip(NEXT) | instid1(VALU_DEP_1)
	v_xor_b32_e32 v10, v10, v11
	v_sub_nc_u32_e32 v16, v10, v11
	s_delay_alu instid0(VALU_DEP_3) | instskip(NEXT) | instid1(VALU_DEP_2)
	v_mul_lo_u32 v10, v13, s86
	v_mul_lo_u32 v11, v16, s52
	v_cmp_gt_i32_e64 s36, s49, v16
	s_delay_alu instid0(VALU_DEP_3) | instskip(NEXT) | instid1(VALU_DEP_3)
	v_sub_nc_u32_e32 v10, v15, v10
	v_cmp_eq_u32_e64 s17, v11, v12
	s_delay_alu instid0(VALU_DEP_2)
	v_subrev_nc_u32_e32 v11, s86, v10
	v_add_nc_u32_e32 v12, 1, v13
	v_cmp_le_u32_e32 vcc_lo, s86, v10
	s_and_b32 s78, s17, s23
	s_and_b32 s80, s17, s26
	s_wait_alu 0xfffd
	v_dual_cndmask_b32 v10, v10, v11 :: v_dual_cndmask_b32 v11, v13, v12
	v_add_nc_u32_e32 v12, -2, v14
	v_sub_nc_u32_e32 v13, 2, v14
	s_delay_alu instid0(VALU_DEP_3) | instskip(NEXT) | instid1(VALU_DEP_2)
	v_cmp_le_u32_e32 vcc_lo, s86, v10
	v_max_i32_e32 v13, v12, v13
	s_delay_alu instid0(VALU_DEP_1) | instskip(NEXT) | instid1(VALU_DEP_1)
	v_mul_hi_u32 v15, v13, s94
	v_mul_lo_u32 v17, v15, s86
	s_delay_alu instid0(VALU_DEP_1) | instskip(SKIP_2) | instid1(VALU_DEP_1)
	v_sub_nc_u32_e32 v13, v13, v17
	v_add_nc_u32_e32 v17, 1, v11
	s_wait_alu 0xfffd
	v_cndmask_b32_e32 v10, v11, v17, vcc_lo
	s_delay_alu instid0(VALU_DEP_3) | instskip(SKIP_2) | instid1(VALU_DEP_2)
	v_subrev_nc_u32_e32 v11, s86, v13
	v_cmp_le_u32_e32 vcc_lo, s86, v13
	s_wait_alu 0xfffd
	v_cndmask_b32_e32 v11, v13, v11, vcc_lo
	v_add_nc_u32_e32 v13, 1, v15
	s_delay_alu instid0(VALU_DEP_1) | instskip(SKIP_1) | instid1(VALU_DEP_4)
	v_cndmask_b32_e32 v13, v15, v13, vcc_lo
	v_ashrrev_i32_e32 v15, 31, v14
	v_cmp_le_u32_e32 vcc_lo, s86, v11
	v_ashrrev_i32_e32 v11, 31, v12
	s_delay_alu instid0(VALU_DEP_3) | instskip(NEXT) | instid1(VALU_DEP_2)
	v_xor_b32_e32 v15, s93, v15
	v_xor_b32_e32 v11, s93, v11
	s_delay_alu instid0(VALU_DEP_2) | instskip(NEXT) | instid1(VALU_DEP_1)
	v_xor_b32_e32 v10, v10, v15
	v_sub_nc_u32_e32 v15, v10, v15
	v_add_nc_u32_e32 v10, 1, v13
	s_delay_alu instid0(VALU_DEP_2) | instskip(SKIP_1) | instid1(VALU_DEP_2)
	v_cmp_gt_i32_e64 s33, s49, v15
	s_wait_alu 0xfffd
	v_cndmask_b32_e32 v10, v13, v10, vcc_lo
	s_delay_alu instid0(VALU_DEP_1) | instskip(NEXT) | instid1(VALU_DEP_1)
	v_xor_b32_e32 v10, v10, v11
	v_sub_nc_u32_e32 v13, v10, v11
	v_mul_lo_u32 v10, v15, s52
	s_delay_alu instid0(VALU_DEP_2) | instskip(NEXT) | instid1(VALU_DEP_2)
	v_cmp_gt_i32_e64 s28, s49, v13
	v_cmp_eq_u32_e64 s8, v10, v14
	v_mul_lo_u32 v10, v13, s52
	s_and_b32 s48, s8, s20
	s_delay_alu instid0(VALU_DEP_1) | instskip(SKIP_1) | instid1(VALU_DEP_1)
	v_cmp_eq_u32_e64 s27, v10, v12
	v_mul_lo_u32 v10, s70, v173
	v_ashrrev_i32_e32 v11, 31, v10
	s_delay_alu instid0(VALU_DEP_1) | instskip(NEXT) | instid1(VALU_DEP_1)
	v_lshlrev_b64_e32 v[10:11], 3, v[10:11]
	v_add_co_u32 v176, vcc_lo, s66, v10
	v_or_b32_e32 v10, v4, v8
	s_wait_alu 0xfffd
	s_delay_alu instid0(VALU_DEP_3) | instskip(NEXT) | instid1(VALU_DEP_2)
	v_add_co_ci_u32_e64 v177, null, s67, v11, vcc_lo
	v_or_b32_e32 v11, v10, v15
	s_delay_alu instid0(VALU_DEP_1) | instskip(SKIP_3) | instid1(VALU_DEP_1)
	v_cmp_lt_i32_e32 vcc_lo, -1, v11
	v_or_b32_e32 v11, v5, v8
	s_wait_alu 0xfffe
	s_and_b32 s44, s77, vcc_lo
	v_or_b32_e32 v12, v11, v15
	s_wait_alu 0xfffe
	s_and_b32 s100, s44, s33
	v_cmp_gt_i32_e64 s44, s51, v6
	s_and_b32 vcc_lo, s48, s5
	v_cmp_lt_i32_e64 s0, -1, v12
	v_or_b32_e32 v12, v6, v8
	s_and_b32 s84, s44, s34
	s_and_b32 s91, s44, s35
	;; [unrolled: 1-line block ×4, first 2 shown]
	v_or_b32_e32 v14, v12, v15
	s_wait_alu 0xfffe
	s_and_b32 s101, s0, s33
	s_and_b32 s0, s48, s3
	s_delay_alu instid0(VALU_DEP_1) | instskip(SKIP_2) | instid1(VALU_DEP_1)
	v_cmp_lt_i32_e64 s1, -1, v14
	v_or_b32_e32 v14, v4, v7
	s_and_b32 s1, s84, s1
	v_or_b32_e32 v17, v14, v15
	s_wait_alu 0xfffe
	s_and_b32 s34, s1, s33
	s_and_b32 s1, s48, s7
	;; [unrolled: 1-line block ×3, first 2 shown]
	v_cmp_lt_i32_e64 s2, -1, v17
	v_or_b32_e32 v17, v5, v7
	s_and_b32 s2, s89, s2
	s_delay_alu instid0(VALU_DEP_1) | instskip(SKIP_3) | instid1(VALU_DEP_1)
	v_or_b32_e32 v18, v17, v15
	s_wait_alu 0xfffe
	s_and_b32 s102, s2, s33
	s_and_b32 s2, s48, s5
	v_cmp_lt_i32_e64 s4, -1, v18
	v_or_b32_e32 v18, v6, v7
	s_and_b32 s4, s90, s4
	s_delay_alu instid0(VALU_DEP_1) | instskip(SKIP_3) | instid1(VALU_DEP_1)
	v_or_b32_e32 v19, v18, v15
	s_wait_alu 0xfffe
	s_and_b32 s103, s4, s33
	s_and_b32 s4, s48, s3
	v_cmp_lt_i32_e64 s6, -1, v19
	v_or_b32_e32 v19, v4, v9
	s_and_b32 s6, s91, s6
	s_delay_alu instid0(VALU_DEP_1)
	v_or_b32_e32 v20, v19, v15
	s_wait_alu 0xfffe
	s_and_b32 s35, s6, s33
	s_and_b32 s6, s48, s7
	;; [unrolled: 1-line block ×4, first 2 shown]
	v_cmp_lt_i32_e64 s31, -1, v20
	v_or_b32_e32 v20, v5, v9
	s_wait_alu 0xfffe
	s_and_b32 s8, s48, s5
	s_and_b32 s31, s92, s31
	s_delay_alu instid0(VALU_DEP_1) | instskip(SKIP_1) | instid1(VALU_DEP_1)
	v_or_b32_e32 v21, v20, v15
	s_and_b32 s31, s31, s33
	v_cmp_lt_i32_e64 s9, -1, v21
	v_or_b32_e32 v21, v6, v9
	s_and_b32 s9, s62, s9
	s_delay_alu instid0(VALU_DEP_1) | instskip(SKIP_3) | instid1(VALU_DEP_1)
	v_or_b32_e32 v22, v21, v15
	s_wait_alu 0xfffe
	s_and_b32 s42, s9, s33
	s_and_b32 s9, s48, s3
	v_cmp_lt_i32_e64 s10, -1, v22
	v_or_b32_e32 v22, v10, v16
	v_or_b32_e32 v10, v10, v13
	s_and_b32 s10, s63, s10
	s_delay_alu instid0(VALU_DEP_2) | instskip(SKIP_1) | instid1(VALU_DEP_3)
	v_cmp_lt_i32_e64 s13, -1, v22
	v_or_b32_e32 v22, v11, v16
	v_cmp_lt_i32_e64 s21, -1, v10
	v_or_b32_e32 v10, v11, v13
	v_or_b32_e32 v11, v18, v13
	s_and_b32 s13, s77, s13
	v_cmp_lt_i32_e64 s11, -1, v22
	v_or_b32_e32 v22, v12, v16
	v_cmp_lt_i32_e64 s22, -1, v10
	v_or_b32_e32 v10, v12, v13
	v_or_b32_e32 v12, v19, v13
	v_cmp_lt_i32_e64 s38, -1, v11
	v_cmp_lt_i32_e64 s12, -1, v22
	v_or_b32_e32 v22, v14, v16
	v_cmp_lt_i32_e64 s25, -1, v10
	v_or_b32_e32 v10, v14, v13
	v_or_b32_e32 v14, v20, v13
	s_wait_alu 0xfffe
	s_and_b32 s37, s13, s36
	v_cmp_lt_i32_e64 s16, -1, v22
	v_or_b32_e32 v22, v17, v16
	v_cmp_lt_i32_e64 s29, -1, v10
	v_or_b32_e32 v10, v17, v13
	s_and_b32 s13, s82, s11
	s_and_b32 s16, s89, s16
	v_cmp_lt_i32_e64 s14, -1, v22
	v_or_b32_e32 v22, v18, v16
	v_cmp_lt_i32_e64 s30, -1, v10
	v_mul_lo_u32 v10, v15, s50
	v_mul_lo_u32 v15, v16, s50
	s_wait_alu 0xfffe
	s_and_b32 s104, s16, s36
	v_cmp_lt_i32_e64 s15, -1, v22
	v_or_b32_e32 v22, v19, v16
	s_and_b32 s16, s90, s14
	s_and_b32 s33, s10, s33
	;; [unrolled: 1-line block ×3, first 2 shown]
	v_add_nc_u32_e32 v17, v8, v10
	v_cmp_lt_i32_e64 s24, -1, v22
	v_or_b32_e32 v22, v20, v16
	v_add_nc_u32_e32 v18, v7, v10
	v_add_nc_u32_e32 v19, v9, v10
	v_add_nc_u32_e32 v23, v8, v15
	v_add_nc_u32_e32 v29, v7, v15
	v_cmp_lt_i32_e64 s19, -1, v22
	v_or_b32_e32 v22, v21, v16
	v_or_b32_e32 v16, v21, v13
	v_mul_lo_u32 v13, v13, s50
	v_add_nc_u32_e32 v35, v9, v15
	v_mul_lo_u32 v11, v17, s51
	v_mul_lo_u32 v17, v18, s51
	;; [unrolled: 1-line block ×6, first 2 shown]
	v_add_nc_u32_e32 v41, v8, v13
	v_add_nc_u32_e32 v47, v7, v13
	;; [unrolled: 1-line block ×3, first 2 shown]
	v_cmp_lt_i32_e64 s18, -1, v22
	s_and_b32 s19, s62, s19
	v_mul_lo_u32 v48, v41, s51
	v_mul_lo_u32 v54, v47, s51
	v_mul_lo_u32 v58, v53, s51
	v_add_nc_u32_e32 v7, v4, v11
	v_add_nc_u32_e32 v9, v5, v11
	;; [unrolled: 1-line block ×9, first 2 shown]
	s_and_b32 s48, s17, s20
	v_add_nc_u32_e32 v25, v4, v30
	s_and_b32 s43, s13, s36
	v_add_nc_u32_e32 v27, v5, v30
	;; [unrolled: 2-line block ×3, first 2 shown]
	v_add_nc_u32_e32 v31, v4, v36
	s_wait_alu 0xfffe
	s_and_b32 vcc_hi, s16, s36
	v_add_nc_u32_e32 v33, v5, v36
	s_and_b32 s16, s91, s15
	v_add_nc_u32_e32 v35, v6, v36
	s_and_b32 s24, s92, s24
	;; [unrolled: 2-line block ×5, first 2 shown]
	v_add_nc_u32_e32 v43, v4, v48
	v_add_nc_u32_e32 v45, v5, v48
	;; [unrolled: 1-line block ×8, first 2 shown]
	s_and_b32 s11, s48, s5
	s_and_b32 s12, s48, s3
	s_and_b32 s44, s13, s36
	s_and_b32 s13, s48, s7
	s_and_b32 s14, s78, s5
	s_and_b32 s15, s78, s3
	s_wait_alu 0xfffe
	s_and_b32 s48, s16, s36
	s_and_b32 s16, s78, s7
	;; [unrolled: 1-line block ×11, first 2 shown]
	v_add_nc_u32_e32 v59, v6, v58
	s_wait_alu 0xfffe
	s_and_b32 s20, s24, s5
	s_and_b32 s77, s21, s28
	;; [unrolled: 1-line block ×6, first 2 shown]
	v_cmp_lt_i32_e64 s39, -1, v12
	v_cmp_lt_i32_e64 s40, -1, v14
	;; [unrolled: 1-line block ×3, first 2 shown]
	v_ashrrev_i32_e32 v8, 31, v7
	v_ashrrev_i32_e32 v10, 31, v9
	;; [unrolled: 1-line block ×26, first 2 shown]
	s_and_b32 s25, s27, s23
	s_wait_alu 0xfffe
	s_and_b32 s29, s24, s28
	s_and_b32 s24, s90, s30
	v_ashrrev_i32_e32 v60, 31, v59
	s_and_b32 s23, s25, s5
	s_wait_alu 0xfffe
	s_and_b32 s30, s24, s28
	s_and_b32 s24, s25, s3
	;; [unrolled: 1-line block ×6, first 2 shown]
	s_mul_i32 s26, s71, s64
	v_lshlrev_b64_e32 v[4:5], 3, v[7:8]
	v_lshlrev_b64_e32 v[6:7], 3, v[9:10]
	;; [unrolled: 1-line block ×26, first 2 shown]
	s_wait_alu 0xfffe
	v_mul_lo_u32 v58, s26, v174
	s_and_b32 s39, s92, s39
	v_lshlrev_b64_e32 v[56:57], 3, v[59:60]
	v_mov_b32_e32 v60, 0
	v_mov_b32_e32 v61, 0
	s_and_b32 s38, s91, s38
	s_and_b32 s27, s39, s28
	;; [unrolled: 1-line block ×7, first 2 shown]
	s_branch .LBB13_7
.LBB13_6:                               ;   in Loop: Header=BB13_7 Depth=2
	s_or_b32 exec_lo, exec_lo, s40
	s_wait_loadcnt 0x1a
	v_fma_f64 v[62:63], v[62:63], v[64:65], v[60:61]
	v_add_nc_u32_e32 v175, 1, v175
	v_add_co_u32 v2, s26, 0xd8, v2
	s_wait_alu 0xf1ff
	v_add_co_ci_u32_e64 v3, null, 0, v3, s26
	s_delay_alu instid0(VALU_DEP_3) | instskip(SKIP_4) | instid1(VALU_DEP_1)
	v_cmp_ge_i32_e64 s26, v175, v178
	v_add_nc_u32_e32 v58, s71, v58
	s_or_b32 s99, s26, s99
	v_dual_cndmask_b32 v61, v61, v63 :: v_dual_cndmask_b32 v60, v60, v62
	s_wait_loadcnt 0x19
	v_fma_f64 v[62:63], v[66:67], v[70:71], v[60:61]
	s_delay_alu instid0(VALU_DEP_1) | instskip(NEXT) | instid1(VALU_DEP_2)
	v_cndmask_b32_e64 v61, v61, v63, s0
	v_cndmask_b32_e64 v60, v60, v62, s0
	s_wait_loadcnt 0x18
	s_delay_alu instid0(VALU_DEP_1) | instskip(NEXT) | instid1(VALU_DEP_1)
	v_fma_f64 v[62:63], v[72:73], v[68:69], v[60:61]
	v_cndmask_b32_e64 v61, v61, v63, s1
	s_delay_alu instid0(VALU_DEP_2) | instskip(SKIP_1) | instid1(VALU_DEP_1)
	v_cndmask_b32_e64 v60, v60, v62, s1
	s_wait_loadcnt 0x17
	v_fma_f64 v[62:63], v[74:75], v[78:79], v[60:61]
	s_delay_alu instid0(VALU_DEP_1) | instskip(NEXT) | instid1(VALU_DEP_2)
	v_cndmask_b32_e64 v61, v61, v63, s2
	v_cndmask_b32_e64 v60, v60, v62, s2
	s_wait_loadcnt 0x16
	s_delay_alu instid0(VALU_DEP_1) | instskip(NEXT) | instid1(VALU_DEP_1)
	v_fma_f64 v[62:63], v[80:81], v[76:77], v[60:61]
	v_cndmask_b32_e64 v61, v61, v63, s4
	s_delay_alu instid0(VALU_DEP_2) | instskip(SKIP_1) | instid1(VALU_DEP_1)
	v_cndmask_b32_e64 v60, v60, v62, s4
	;; [unrolled: 11-line block ×12, first 2 shown]
	s_wait_loadcnt 0x1
	v_fma_f64 v[62:63], v[162:163], v[166:167], v[60:61]
	s_delay_alu instid0(VALU_DEP_1) | instskip(NEXT) | instid1(VALU_DEP_2)
	v_cndmask_b32_e64 v61, v61, v63, s3
	v_cndmask_b32_e64 v60, v60, v62, s3
	s_wait_loadcnt 0x0
	s_delay_alu instid0(VALU_DEP_1) | instskip(NEXT) | instid1(VALU_DEP_1)
	v_fma_f64 v[62:63], v[168:169], v[164:165], v[60:61]
	v_cndmask_b32_e64 v61, v61, v63, s7
	s_delay_alu instid0(VALU_DEP_2)
	v_cndmask_b32_e64 v60, v60, v62, s7
	s_wait_alu 0xfffe
	s_and_not1_b32 exec_lo, exec_lo, s99
	s_cbranch_execz .LBB13_2
.LBB13_7:                               ;   Parent Loop BB13_4 Depth=1
                                        ; =>  This Inner Loop Header: Depth=2
	global_load_b64 v[62:63], v[2:3], off
	v_ashrrev_i32_e32 v59, 31, v58
	v_mov_b32_e32 v64, 0
	v_mov_b32_e32 v65, 0
	s_delay_alu instid0(VALU_DEP_3) | instskip(NEXT) | instid1(VALU_DEP_1)
	v_lshlrev_b64_e32 v[66:67], 3, v[58:59]
	v_add_co_u32 v59, s26, v176, v66
	s_wait_alu 0xf1ff
	s_delay_alu instid0(VALU_DEP_2)
	v_add_co_ci_u32_e64 v179, null, v177, v67, s26
	s_and_saveexec_b32 s40, s100
	s_cbranch_execz .LBB13_9
; %bb.8:                                ;   in Loop: Header=BB13_7 Depth=2
	v_add_co_u32 v64, s26, v59, v4
	s_wait_alu 0xf1ff
	v_add_co_ci_u32_e64 v65, null, v179, v5, s26
	global_load_b64 v[64:65], v[64:65], off
.LBB13_9:                               ;   in Loop: Header=BB13_7 Depth=2
	s_or_b32 exec_lo, exec_lo, s40
	global_load_b64 v[66:67], v[2:3], off offset:8
	v_mov_b32_e32 v68, 0
	v_dual_mov_b32 v69, 0 :: v_dual_mov_b32 v70, 0
	v_mov_b32_e32 v71, 0
	s_and_saveexec_b32 s40, s101
	s_cbranch_execz .LBB13_11
; %bb.10:                               ;   in Loop: Header=BB13_7 Depth=2
	v_add_co_u32 v70, s26, v59, v6
	s_wait_alu 0xf1ff
	v_add_co_ci_u32_e64 v71, null, v179, v7, s26
	global_load_b64 v[70:71], v[70:71], off
.LBB13_11:                              ;   in Loop: Header=BB13_7 Depth=2
	s_or_b32 exec_lo, exec_lo, s40
	global_load_b64 v[72:73], v[2:3], off offset:16
	s_and_saveexec_b32 s40, s34
	s_cbranch_execz .LBB13_13
; %bb.12:                               ;   in Loop: Header=BB13_7 Depth=2
	v_add_co_u32 v68, s26, v59, v8
	s_wait_alu 0xf1ff
	v_add_co_ci_u32_e64 v69, null, v179, v9, s26
	global_load_b64 v[68:69], v[68:69], off
.LBB13_13:                              ;   in Loop: Header=BB13_7 Depth=2
	s_or_b32 exec_lo, exec_lo, s40
	global_load_b64 v[74:75], v[2:3], off offset:24
	v_mov_b32_e32 v76, 0
	v_dual_mov_b32 v77, 0 :: v_dual_mov_b32 v78, 0
	v_mov_b32_e32 v79, 0
	s_and_saveexec_b32 s40, s102
	s_cbranch_execz .LBB13_15
; %bb.14:                               ;   in Loop: Header=BB13_7 Depth=2
	v_add_co_u32 v78, s26, v59, v10
	s_wait_alu 0xf1ff
	v_add_co_ci_u32_e64 v79, null, v179, v11, s26
	global_load_b64 v[78:79], v[78:79], off
.LBB13_15:                              ;   in Loop: Header=BB13_7 Depth=2
	s_or_b32 exec_lo, exec_lo, s40
	global_load_b64 v[80:81], v[2:3], off offset:32
	s_and_saveexec_b32 s40, s103
	s_cbranch_execz .LBB13_17
; %bb.16:                               ;   in Loop: Header=BB13_7 Depth=2
	v_add_co_u32 v76, s26, v59, v12
	s_wait_alu 0xf1ff
	v_add_co_ci_u32_e64 v77, null, v179, v13, s26
	global_load_b64 v[76:77], v[76:77], off
.LBB13_17:                              ;   in Loop: Header=BB13_7 Depth=2
	;; [unrolled: 23-line block ×5, first 2 shown]
	s_or_b32 exec_lo, exec_lo, s40
	global_load_b64 v[106:107], v[2:3], off offset:88
	v_mov_b32_e32 v108, 0
	v_dual_mov_b32 v109, 0 :: v_dual_mov_b32 v110, 0
	v_mov_b32_e32 v111, 0
	s_wait_alu 0xfffe
	s_and_saveexec_b32 s40, s44
	s_cbranch_execz .LBB13_31
; %bb.30:                               ;   in Loop: Header=BB13_7 Depth=2
	v_add_co_u32 v110, s26, v59, v26
	s_wait_alu 0xf1ff
	v_add_co_ci_u32_e64 v111, null, v179, v27, s26
	global_load_b64 v[110:111], v[110:111], off
.LBB13_31:                              ;   in Loop: Header=BB13_7 Depth=2
	s_or_b32 exec_lo, exec_lo, s40
	global_load_b64 v[112:113], v[2:3], off offset:96
	s_and_saveexec_b32 s40, s104
	s_cbranch_execz .LBB13_33
; %bb.32:                               ;   in Loop: Header=BB13_7 Depth=2
	v_add_co_u32 v108, s26, v59, v28
	s_wait_alu 0xf1ff
	v_add_co_ci_u32_e64 v109, null, v179, v29, s26
	global_load_b64 v[108:109], v[108:109], off
.LBB13_33:                              ;   in Loop: Header=BB13_7 Depth=2
	s_or_b32 exec_lo, exec_lo, s40
	global_load_b64 v[114:115], v[2:3], off offset:104
	v_mov_b32_e32 v116, 0
	v_dual_mov_b32 v117, 0 :: v_dual_mov_b32 v118, 0
	v_mov_b32_e32 v119, 0
	s_and_saveexec_b32 s40, vcc_hi
	s_cbranch_execz .LBB13_35
; %bb.34:                               ;   in Loop: Header=BB13_7 Depth=2
	v_add_co_u32 v118, s26, v59, v30
	s_wait_alu 0xf1ff
	v_add_co_ci_u32_e64 v119, null, v179, v31, s26
	global_load_b64 v[118:119], v[118:119], off
.LBB13_35:                              ;   in Loop: Header=BB13_7 Depth=2
	s_or_b32 exec_lo, exec_lo, s40
	global_load_b64 v[120:121], v[2:3], off offset:112
	s_and_saveexec_b32 s40, s48
	s_cbranch_execz .LBB13_37
; %bb.36:                               ;   in Loop: Header=BB13_7 Depth=2
	v_add_co_u32 v116, s26, v59, v32
	s_wait_alu 0xf1ff
	v_add_co_ci_u32_e64 v117, null, v179, v33, s26
	global_load_b64 v[116:117], v[116:117], off
.LBB13_37:                              ;   in Loop: Header=BB13_7 Depth=2
	s_or_b32 exec_lo, exec_lo, s40
	global_load_b64 v[122:123], v[2:3], off offset:120
	v_mov_b32_e32 v124, 0
	v_dual_mov_b32 v125, 0 :: v_dual_mov_b32 v126, 0
	v_mov_b32_e32 v127, 0
	s_and_saveexec_b32 s40, s78
	s_cbranch_execz .LBB13_39
; %bb.38:                               ;   in Loop: Header=BB13_7 Depth=2
	v_add_co_u32 v126, s26, v59, v34
	s_wait_alu 0xf1ff
	v_add_co_ci_u32_e64 v127, null, v179, v35, s26
	global_load_b64 v[126:127], v[126:127], off
.LBB13_39:                              ;   in Loop: Header=BB13_7 Depth=2
	s_or_b32 exec_lo, exec_lo, s40
	global_load_b64 v[128:129], v[2:3], off offset:128
	s_and_saveexec_b32 s40, s79
	s_cbranch_execz .LBB13_41
; %bb.40:                               ;   in Loop: Header=BB13_7 Depth=2
	v_add_co_u32 v124, s26, v59, v36
	s_wait_alu 0xf1ff
	v_add_co_ci_u32_e64 v125, null, v179, v37, s26
	global_load_b64 v[124:125], v[124:125], off
.LBB13_41:                              ;   in Loop: Header=BB13_7 Depth=2
	s_or_b32 exec_lo, exec_lo, s40
	global_load_b64 v[130:131], v[2:3], off offset:136
	v_mov_b32_e32 v132, 0
	v_dual_mov_b32 v133, 0 :: v_dual_mov_b32 v134, 0
	v_mov_b32_e32 v135, 0
	s_and_saveexec_b32 s40, s36
	;; [unrolled: 23-line block ×6, first 2 shown]
	s_cbranch_execz .LBB13_59
; %bb.58:                               ;   in Loop: Header=BB13_7 Depth=2
	v_add_co_u32 v166, s26, v59, v54
	s_wait_alu 0xf1ff
	v_add_co_ci_u32_e64 v167, null, v179, v55, s26
	global_load_b64 v[166:167], v[166:167], off
.LBB13_59:                              ;   in Loop: Header=BB13_7 Depth=2
	s_or_b32 exec_lo, exec_lo, s40
	global_load_b64 v[168:169], v[2:3], off offset:208
	s_and_saveexec_b32 s40, s28
	s_cbranch_execz .LBB13_6
; %bb.60:                               ;   in Loop: Header=BB13_7 Depth=2
	v_add_co_u32 v164, s26, v59, v56
	s_wait_alu 0xf1ff
	v_add_co_ci_u32_e64 v165, null, v179, v57, s26
	global_load_b64 v[164:165], v[164:165], off
	s_branch .LBB13_6
.LBB13_61:                              ;   in Loop: Header=BB13_4 Depth=1
	v_mov_b32_e32 v60, 0
	v_mov_b32_e32 v61, 0
	s_branch .LBB13_3
.LBB13_62:
	s_nop 0
	s_sendmsg sendmsg(MSG_DEALLOC_VGPRS)
	s_endpgm
	.section	.rodata,"a",@progbits
	.p2align	6, 0x0
	.amdhsa_kernel _ZN2at6native12_GLOBAL__N_143conv_depthwise3d_cuda_backward_input_kernelIddLi3ELi3ELi3ELi1ELi1ELi1ELin1ELin1ELin1EEEvN5torch10headeronly6detail27GenericPackedTensorAccessorINS5_14TensorAccessorIN3c108ArrayRefIlEEKT_Lm4ENS4_16DefaultPtrTraitsEiEENS_6detail16IndexBoundsCheckILm5EiEESC_Lm5ESD_iEENS6_INS7_ISA_SB_Lm4ESD_iEESH_SB_Lm5ESD_iEESI_iiiiiiiii
		.amdhsa_group_segment_fixed_size 0
		.amdhsa_private_segment_fixed_size 0
		.amdhsa_kernarg_size 440
		.amdhsa_user_sgpr_count 2
		.amdhsa_user_sgpr_dispatch_ptr 0
		.amdhsa_user_sgpr_queue_ptr 0
		.amdhsa_user_sgpr_kernarg_segment_ptr 1
		.amdhsa_user_sgpr_dispatch_id 0
		.amdhsa_user_sgpr_private_segment_size 0
		.amdhsa_wavefront_size32 1
		.amdhsa_uses_dynamic_stack 0
		.amdhsa_enable_private_segment 0
		.amdhsa_system_sgpr_workgroup_id_x 1
		.amdhsa_system_sgpr_workgroup_id_y 0
		.amdhsa_system_sgpr_workgroup_id_z 0
		.amdhsa_system_sgpr_workgroup_info 0
		.amdhsa_system_vgpr_workitem_id 0
		.amdhsa_next_free_vgpr 181
		.amdhsa_next_free_sgpr 105
		.amdhsa_reserve_vcc 1
		.amdhsa_float_round_mode_32 0
		.amdhsa_float_round_mode_16_64 0
		.amdhsa_float_denorm_mode_32 3
		.amdhsa_float_denorm_mode_16_64 3
		.amdhsa_fp16_overflow 0
		.amdhsa_workgroup_processor_mode 1
		.amdhsa_memory_ordered 1
		.amdhsa_forward_progress 1
		.amdhsa_inst_pref_size 56
		.amdhsa_round_robin_scheduling 0
		.amdhsa_exception_fp_ieee_invalid_op 0
		.amdhsa_exception_fp_denorm_src 0
		.amdhsa_exception_fp_ieee_div_zero 0
		.amdhsa_exception_fp_ieee_overflow 0
		.amdhsa_exception_fp_ieee_underflow 0
		.amdhsa_exception_fp_ieee_inexact 0
		.amdhsa_exception_int_div_zero 0
	.end_amdhsa_kernel
	.section	.text._ZN2at6native12_GLOBAL__N_143conv_depthwise3d_cuda_backward_input_kernelIddLi3ELi3ELi3ELi1ELi1ELi1ELin1ELin1ELin1EEEvN5torch10headeronly6detail27GenericPackedTensorAccessorINS5_14TensorAccessorIN3c108ArrayRefIlEEKT_Lm4ENS4_16DefaultPtrTraitsEiEENS_6detail16IndexBoundsCheckILm5EiEESC_Lm5ESD_iEENS6_INS7_ISA_SB_Lm4ESD_iEESH_SB_Lm5ESD_iEESI_iiiiiiiii,"axG",@progbits,_ZN2at6native12_GLOBAL__N_143conv_depthwise3d_cuda_backward_input_kernelIddLi3ELi3ELi3ELi1ELi1ELi1ELin1ELin1ELin1EEEvN5torch10headeronly6detail27GenericPackedTensorAccessorINS5_14TensorAccessorIN3c108ArrayRefIlEEKT_Lm4ENS4_16DefaultPtrTraitsEiEENS_6detail16IndexBoundsCheckILm5EiEESC_Lm5ESD_iEENS6_INS7_ISA_SB_Lm4ESD_iEESH_SB_Lm5ESD_iEESI_iiiiiiiii,comdat
.Lfunc_end13:
	.size	_ZN2at6native12_GLOBAL__N_143conv_depthwise3d_cuda_backward_input_kernelIddLi3ELi3ELi3ELi1ELi1ELi1ELin1ELin1ELin1EEEvN5torch10headeronly6detail27GenericPackedTensorAccessorINS5_14TensorAccessorIN3c108ArrayRefIlEEKT_Lm4ENS4_16DefaultPtrTraitsEiEENS_6detail16IndexBoundsCheckILm5EiEESC_Lm5ESD_iEENS6_INS7_ISA_SB_Lm4ESD_iEESH_SB_Lm5ESD_iEESI_iiiiiiiii, .Lfunc_end13-_ZN2at6native12_GLOBAL__N_143conv_depthwise3d_cuda_backward_input_kernelIddLi3ELi3ELi3ELi1ELi1ELi1ELin1ELin1ELin1EEEvN5torch10headeronly6detail27GenericPackedTensorAccessorINS5_14TensorAccessorIN3c108ArrayRefIlEEKT_Lm4ENS4_16DefaultPtrTraitsEiEENS_6detail16IndexBoundsCheckILm5EiEESC_Lm5ESD_iEENS6_INS7_ISA_SB_Lm4ESD_iEESH_SB_Lm5ESD_iEESI_iiiiiiiii
                                        ; -- End function
	.set _ZN2at6native12_GLOBAL__N_143conv_depthwise3d_cuda_backward_input_kernelIddLi3ELi3ELi3ELi1ELi1ELi1ELin1ELin1ELin1EEEvN5torch10headeronly6detail27GenericPackedTensorAccessorINS5_14TensorAccessorIN3c108ArrayRefIlEEKT_Lm4ENS4_16DefaultPtrTraitsEiEENS_6detail16IndexBoundsCheckILm5EiEESC_Lm5ESD_iEENS6_INS7_ISA_SB_Lm4ESD_iEESH_SB_Lm5ESD_iEESI_iiiiiiiii.num_vgpr, 181
	.set _ZN2at6native12_GLOBAL__N_143conv_depthwise3d_cuda_backward_input_kernelIddLi3ELi3ELi3ELi1ELi1ELi1ELin1ELin1ELin1EEEvN5torch10headeronly6detail27GenericPackedTensorAccessorINS5_14TensorAccessorIN3c108ArrayRefIlEEKT_Lm4ENS4_16DefaultPtrTraitsEiEENS_6detail16IndexBoundsCheckILm5EiEESC_Lm5ESD_iEENS6_INS7_ISA_SB_Lm4ESD_iEESH_SB_Lm5ESD_iEESI_iiiiiiiii.num_agpr, 0
	.set _ZN2at6native12_GLOBAL__N_143conv_depthwise3d_cuda_backward_input_kernelIddLi3ELi3ELi3ELi1ELi1ELi1ELin1ELin1ELin1EEEvN5torch10headeronly6detail27GenericPackedTensorAccessorINS5_14TensorAccessorIN3c108ArrayRefIlEEKT_Lm4ENS4_16DefaultPtrTraitsEiEENS_6detail16IndexBoundsCheckILm5EiEESC_Lm5ESD_iEENS6_INS7_ISA_SB_Lm4ESD_iEESH_SB_Lm5ESD_iEESI_iiiiiiiii.numbered_sgpr, 105
	.set _ZN2at6native12_GLOBAL__N_143conv_depthwise3d_cuda_backward_input_kernelIddLi3ELi3ELi3ELi1ELi1ELi1ELin1ELin1ELin1EEEvN5torch10headeronly6detail27GenericPackedTensorAccessorINS5_14TensorAccessorIN3c108ArrayRefIlEEKT_Lm4ENS4_16DefaultPtrTraitsEiEENS_6detail16IndexBoundsCheckILm5EiEESC_Lm5ESD_iEENS6_INS7_ISA_SB_Lm4ESD_iEESH_SB_Lm5ESD_iEESI_iiiiiiiii.num_named_barrier, 0
	.set _ZN2at6native12_GLOBAL__N_143conv_depthwise3d_cuda_backward_input_kernelIddLi3ELi3ELi3ELi1ELi1ELi1ELin1ELin1ELin1EEEvN5torch10headeronly6detail27GenericPackedTensorAccessorINS5_14TensorAccessorIN3c108ArrayRefIlEEKT_Lm4ENS4_16DefaultPtrTraitsEiEENS_6detail16IndexBoundsCheckILm5EiEESC_Lm5ESD_iEENS6_INS7_ISA_SB_Lm4ESD_iEESH_SB_Lm5ESD_iEESI_iiiiiiiii.private_seg_size, 0
	.set _ZN2at6native12_GLOBAL__N_143conv_depthwise3d_cuda_backward_input_kernelIddLi3ELi3ELi3ELi1ELi1ELi1ELin1ELin1ELin1EEEvN5torch10headeronly6detail27GenericPackedTensorAccessorINS5_14TensorAccessorIN3c108ArrayRefIlEEKT_Lm4ENS4_16DefaultPtrTraitsEiEENS_6detail16IndexBoundsCheckILm5EiEESC_Lm5ESD_iEENS6_INS7_ISA_SB_Lm4ESD_iEESH_SB_Lm5ESD_iEESI_iiiiiiiii.uses_vcc, 1
	.set _ZN2at6native12_GLOBAL__N_143conv_depthwise3d_cuda_backward_input_kernelIddLi3ELi3ELi3ELi1ELi1ELi1ELin1ELin1ELin1EEEvN5torch10headeronly6detail27GenericPackedTensorAccessorINS5_14TensorAccessorIN3c108ArrayRefIlEEKT_Lm4ENS4_16DefaultPtrTraitsEiEENS_6detail16IndexBoundsCheckILm5EiEESC_Lm5ESD_iEENS6_INS7_ISA_SB_Lm4ESD_iEESH_SB_Lm5ESD_iEESI_iiiiiiiii.uses_flat_scratch, 0
	.set _ZN2at6native12_GLOBAL__N_143conv_depthwise3d_cuda_backward_input_kernelIddLi3ELi3ELi3ELi1ELi1ELi1ELin1ELin1ELin1EEEvN5torch10headeronly6detail27GenericPackedTensorAccessorINS5_14TensorAccessorIN3c108ArrayRefIlEEKT_Lm4ENS4_16DefaultPtrTraitsEiEENS_6detail16IndexBoundsCheckILm5EiEESC_Lm5ESD_iEENS6_INS7_ISA_SB_Lm4ESD_iEESH_SB_Lm5ESD_iEESI_iiiiiiiii.has_dyn_sized_stack, 0
	.set _ZN2at6native12_GLOBAL__N_143conv_depthwise3d_cuda_backward_input_kernelIddLi3ELi3ELi3ELi1ELi1ELi1ELin1ELin1ELin1EEEvN5torch10headeronly6detail27GenericPackedTensorAccessorINS5_14TensorAccessorIN3c108ArrayRefIlEEKT_Lm4ENS4_16DefaultPtrTraitsEiEENS_6detail16IndexBoundsCheckILm5EiEESC_Lm5ESD_iEENS6_INS7_ISA_SB_Lm4ESD_iEESH_SB_Lm5ESD_iEESI_iiiiiiiii.has_recursion, 0
	.set _ZN2at6native12_GLOBAL__N_143conv_depthwise3d_cuda_backward_input_kernelIddLi3ELi3ELi3ELi1ELi1ELi1ELin1ELin1ELin1EEEvN5torch10headeronly6detail27GenericPackedTensorAccessorINS5_14TensorAccessorIN3c108ArrayRefIlEEKT_Lm4ENS4_16DefaultPtrTraitsEiEENS_6detail16IndexBoundsCheckILm5EiEESC_Lm5ESD_iEENS6_INS7_ISA_SB_Lm4ESD_iEESH_SB_Lm5ESD_iEESI_iiiiiiiii.has_indirect_call, 0
	.section	.AMDGPU.csdata,"",@progbits
; Kernel info:
; codeLenInByte = 7140
; TotalNumSgprs: 107
; NumVgprs: 181
; ScratchSize: 0
; MemoryBound: 0
; FloatMode: 240
; IeeeMode: 1
; LDSByteSize: 0 bytes/workgroup (compile time only)
; SGPRBlocks: 0
; VGPRBlocks: 22
; NumSGPRsForWavesPerEU: 107
; NumVGPRsForWavesPerEU: 181
; Occupancy: 8
; WaveLimiterHint : 0
; COMPUTE_PGM_RSRC2:SCRATCH_EN: 0
; COMPUTE_PGM_RSRC2:USER_SGPR: 2
; COMPUTE_PGM_RSRC2:TRAP_HANDLER: 0
; COMPUTE_PGM_RSRC2:TGID_X_EN: 1
; COMPUTE_PGM_RSRC2:TGID_Y_EN: 0
; COMPUTE_PGM_RSRC2:TGID_Z_EN: 0
; COMPUTE_PGM_RSRC2:TIDIG_COMP_CNT: 0
	.section	.text._ZN2at6native12_GLOBAL__N_143conv_depthwise3d_cuda_backward_input_kernelIddLi3ELi3ELi3ELin1ELin1ELin1ELi1ELi1ELi1EEEvN5torch10headeronly6detail27GenericPackedTensorAccessorINS5_14TensorAccessorIN3c108ArrayRefIlEEKT_Lm4ENS4_16DefaultPtrTraitsEiEENS_6detail16IndexBoundsCheckILm5EiEESC_Lm5ESD_iEENS6_INS7_ISA_SB_Lm4ESD_iEESH_SB_Lm5ESD_iEESI_iiiiiiiii,"axG",@progbits,_ZN2at6native12_GLOBAL__N_143conv_depthwise3d_cuda_backward_input_kernelIddLi3ELi3ELi3ELin1ELin1ELin1ELi1ELi1ELi1EEEvN5torch10headeronly6detail27GenericPackedTensorAccessorINS5_14TensorAccessorIN3c108ArrayRefIlEEKT_Lm4ENS4_16DefaultPtrTraitsEiEENS_6detail16IndexBoundsCheckILm5EiEESC_Lm5ESD_iEENS6_INS7_ISA_SB_Lm4ESD_iEESH_SB_Lm5ESD_iEESI_iiiiiiiii,comdat
	.globl	_ZN2at6native12_GLOBAL__N_143conv_depthwise3d_cuda_backward_input_kernelIddLi3ELi3ELi3ELin1ELin1ELin1ELi1ELi1ELi1EEEvN5torch10headeronly6detail27GenericPackedTensorAccessorINS5_14TensorAccessorIN3c108ArrayRefIlEEKT_Lm4ENS4_16DefaultPtrTraitsEiEENS_6detail16IndexBoundsCheckILm5EiEESC_Lm5ESD_iEENS6_INS7_ISA_SB_Lm4ESD_iEESH_SB_Lm5ESD_iEESI_iiiiiiiii ; -- Begin function _ZN2at6native12_GLOBAL__N_143conv_depthwise3d_cuda_backward_input_kernelIddLi3ELi3ELi3ELin1ELin1ELin1ELi1ELi1ELi1EEEvN5torch10headeronly6detail27GenericPackedTensorAccessorINS5_14TensorAccessorIN3c108ArrayRefIlEEKT_Lm4ENS4_16DefaultPtrTraitsEiEENS_6detail16IndexBoundsCheckILm5EiEESC_Lm5ESD_iEENS6_INS7_ISA_SB_Lm4ESD_iEESH_SB_Lm5ESD_iEESI_iiiiiiiii
	.p2align	8
	.type	_ZN2at6native12_GLOBAL__N_143conv_depthwise3d_cuda_backward_input_kernelIddLi3ELi3ELi3ELin1ELin1ELin1ELi1ELi1ELi1EEEvN5torch10headeronly6detail27GenericPackedTensorAccessorINS5_14TensorAccessorIN3c108ArrayRefIlEEKT_Lm4ENS4_16DefaultPtrTraitsEiEENS_6detail16IndexBoundsCheckILm5EiEESC_Lm5ESD_iEENS6_INS7_ISA_SB_Lm4ESD_iEESH_SB_Lm5ESD_iEESI_iiiiiiiii,@function
_ZN2at6native12_GLOBAL__N_143conv_depthwise3d_cuda_backward_input_kernelIddLi3ELi3ELi3ELin1ELin1ELin1ELi1ELi1ELi1EEEvN5torch10headeronly6detail27GenericPackedTensorAccessorINS5_14TensorAccessorIN3c108ArrayRefIlEEKT_Lm4ENS4_16DefaultPtrTraitsEiEENS_6detail16IndexBoundsCheckILm5EiEESC_Lm5ESD_iEENS6_INS7_ISA_SB_Lm4ESD_iEESH_SB_Lm5ESD_iEESI_iiiiiiiii: ; @_ZN2at6native12_GLOBAL__N_143conv_depthwise3d_cuda_backward_input_kernelIddLi3ELi3ELi3ELin1ELin1ELin1ELi1ELi1ELi1EEEvN5torch10headeronly6detail27GenericPackedTensorAccessorINS5_14TensorAccessorIN3c108ArrayRefIlEEKT_Lm4ENS4_16DefaultPtrTraitsEiEENS_6detail16IndexBoundsCheckILm5EiEESC_Lm5ESD_iEENS6_INS7_ISA_SB_Lm4ESD_iEESH_SB_Lm5ESD_iEESI_iiiiiiiii
; %bb.0:
	s_clause 0x2
	s_load_b128 s[4:7], s[0:1], 0x38
	s_load_b32 s2, s[0:1], 0xc4
	s_load_b64 s[20:21], s[0:1], 0x48
	v_mov_b32_e32 v1, 0
	s_wait_kmcnt 0x0
	s_abs_i32 s33, s5
	s_and_b32 s2, s2, 0xffff
	s_cvt_f32_u32 s3, s33
	v_mad_co_u64_u32 v[0:1], null, s2, ttmp9, v[0:1]
	s_mul_i32 s22, s21, s4
	s_delay_alu instid0(SALU_CYCLE_1) | instskip(SKIP_2) | instid1(TRANS32_DEP_1)
	v_rcp_iflag_f32_e32 v2, s3
	s_ashr_i32 s23, s22, 31
	s_mov_b32 s4, exec_lo
	v_readfirstlane_b32 s3, v2
	v_cmpx_gt_i64_e64 s[22:23], v[0:1]
	s_cbranch_execz .LBB14_62
; %bb.1:
	s_clause 0x1
	s_load_b128 s[8:11], s[0:1], 0xc
	s_load_b64 s[26:27], s[0:1], 0x0
	s_mul_f32 s3, s3, 0x4f7ffffe
	s_sub_co_i32 s4, 0, s33
	s_mov_b32 s25, 0
	s_ashr_i32 s38, s5, 31
	s_wait_alu 0xfffe
	s_cvt_u32_f32 s3, s3
	s_mov_b32 s13, s25
	s_add_nc_u64 s[16:17], s[0:1], 0xb8
	s_load_b64 s[28:29], s[0:1], 0xac
	s_mul_i32 s12, s4, s3
	s_delay_alu instid0(SALU_CYCLE_1) | instskip(NEXT) | instid1(SALU_CYCLE_1)
	s_mul_hi_u32 s12, s3, s12
	s_add_co_i32 s12, s3, s12
	v_readfirstlane_b32 s3, v2
	s_mul_f32 s3, s3, 0x4f7ffffe
	s_wait_kmcnt 0x0
	s_abs_i32 s24, s8
	s_ashr_i32 s8, s8, 31
	s_mul_u64 s[18:19], s[24:25], s[12:13]
	s_xor_b32 s8, s8, s38
	s_mul_i32 s18, s19, s33
	s_clause 0x1
	s_load_b128 s[12:15], s[0:1], 0x9c
	s_load_b32 s39, s[0:1], 0x7c
	s_sub_co_i32 s18, s24, s18
	s_add_co_i32 s24, s19, 1
	s_sub_co_i32 s30, s18, s33
	s_cmp_ge_u32 s18, s33
	s_load_b32 s43, s[16:17], 0x0
	s_cselect_b32 s16, s24, s19
	s_cselect_b32 s17, s30, s18
	s_add_co_i32 s18, s16, 1
	s_cmp_ge_u32 s17, s33
	s_clause 0x1
	s_load_b64 s[30:31], s[0:1], 0x1c
	s_load_b64 s[34:35], s[0:1], 0x30
	s_cselect_b32 s16, s18, s16
	s_cvt_u32_f32 s3, s3
	s_xor_b32 s16, s16, s8
	s_delay_alu instid0(SALU_CYCLE_1)
	s_sub_co_i32 s8, s16, s8
	s_clause 0x1
	s_load_b64 s[36:37], s[0:1], 0x60
	s_load_b128 s[16:19], s[0:1], 0x50
	s_cmp_gt_i32 s8, 0
	s_mul_i32 s4, s4, s3
	s_cselect_b32 s24, -1, 0
	s_abs_i32 s40, s20
	s_abs_i32 s41, s7
	;; [unrolled: 1-line block ×3, first 2 shown]
	s_cvt_f32_u32 s0, s40
	s_cvt_f32_u32 s1, s41
	;; [unrolled: 1-line block ×3, first 2 shown]
	s_wait_kmcnt 0x0
	s_mul_i32 s43, s43, s2
	s_wait_alu 0xfffe
	v_rcp_iflag_f32_e32 v2, s0
	v_rcp_iflag_f32_e32 v3, s1
	;; [unrolled: 1-line block ×3, first 2 shown]
	s_sub_co_i32 s50, 0, s40
	s_sub_co_i32 s51, 0, s41
	;; [unrolled: 1-line block ×3, first 2 shown]
	s_mul_hi_u32 s4, s3, s4
	s_lshl_b32 s44, s29, 1
	s_lshl_b32 s45, s28, 1
	;; [unrolled: 1-line block ×3, first 2 shown]
	v_readfirstlane_b32 s0, v2
	v_readfirstlane_b32 s1, v3
	;; [unrolled: 1-line block ×3, first 2 shown]
	s_ashr_i32 s47, s20, 31
	s_ashr_i32 s48, s7, 31
	s_mul_f32 s0, s0, 0x4f7ffffe
	s_mul_f32 s1, s1, 0x4f7ffffe
	;; [unrolled: 1-line block ×3, first 2 shown]
	s_ashr_i32 s49, s6, 31
	s_wait_alu 0xfffe
	s_cvt_u32_f32 s0, s0
	s_cvt_u32_f32 s1, s1
	;; [unrolled: 1-line block ×3, first 2 shown]
	s_add_co_i32 s53, s3, s4
	s_wait_alu 0xfffe
	s_mul_i32 s50, s50, s0
	s_mul_i32 s51, s51, s1
	;; [unrolled: 1-line block ×3, first 2 shown]
	s_mul_hi_u32 s50, s0, s50
	s_mul_hi_u32 s51, s1, s51
	;; [unrolled: 1-line block ×3, first 2 shown]
	s_add_co_i32 s50, s0, s50
	s_add_co_i32 s51, s1, s51
	;; [unrolled: 1-line block ×3, first 2 shown]
	s_mul_i32 s54, s31, s8
	s_branch .LBB14_4
.LBB14_2:                               ;   in Loop: Header=BB14_4 Depth=1
	s_or_b32 exec_lo, exec_lo, s77
.LBB14_3:                               ;   in Loop: Header=BB14_4 Depth=1
	v_mul_lo_u32 v2, v173, s21
	v_mul_lo_u32 v6, s16, v174
	;; [unrolled: 1-line block ×4, first 2 shown]
	v_add_co_u32 v0, vcc_lo, v0, s43
	s_wait_alu 0xfffd
	v_add_co_ci_u32_e64 v1, null, 0, v1, vcc_lo
	v_ashrrev_i32_e32 v3, 31, v2
	v_ashrrev_i32_e32 v7, 31, v6
	;; [unrolled: 1-line block ×3, first 2 shown]
	v_mul_lo_u32 v12, s19, v170
	v_ashrrev_i32_e32 v11, 31, v10
	v_lshlrev_b64_e32 v[2:3], 3, v[2:3]
	v_lshlrev_b64_e32 v[6:7], 3, v[6:7]
	s_delay_alu instid0(VALU_DEP_4) | instskip(NEXT) | instid1(VALU_DEP_3)
	v_ashrrev_i32_e32 v13, 31, v12
	v_add_co_u32 v14, vcc_lo, s34, v2
	s_wait_alu 0xfffd
	s_delay_alu instid0(VALU_DEP_4) | instskip(SKIP_1) | instid1(VALU_DEP_3)
	v_add_co_ci_u32_e64 v15, null, s35, v3, vcc_lo
	v_lshlrev_b64_e32 v[2:3], 3, v[8:9]
	v_add_co_u32 v8, vcc_lo, v14, v6
	s_wait_alu 0xfffd
	s_delay_alu instid0(VALU_DEP_3) | instskip(SKIP_1) | instid1(VALU_DEP_3)
	v_add_co_ci_u32_e64 v9, null, v15, v7, vcc_lo
	v_lshlrev_b64_e32 v[6:7], 3, v[10:11]
	v_add_co_u32 v8, vcc_lo, v8, v2
	s_wait_alu 0xfffd
	s_delay_alu instid0(VALU_DEP_3) | instskip(SKIP_1) | instid1(VALU_DEP_3)
	;; [unrolled: 5-line block ×3, first 2 shown]
	v_add_co_ci_u32_e64 v7, null, v9, v7, vcc_lo
	v_cmp_le_i64_e32 vcc_lo, s[22:23], v[0:1]
	v_add_co_u32 v2, s0, v6, v2
	s_wait_alu 0xf1ff
	s_delay_alu instid0(VALU_DEP_3)
	v_add_co_ci_u32_e64 v3, null, v7, v3, s0
	s_or_b32 s25, vcc_lo, s25
	global_store_b64 v[2:3], v[4:5], off
	s_and_not1_b32 exec_lo, exec_lo, s25
	s_cbranch_execz .LBB14_62
.LBB14_4:                               ; =>This Loop Header: Depth=1
                                        ;     Child Loop BB14_7 Depth 2
	v_sub_nc_u32_e32 v2, 0, v0
	s_delay_alu instid0(VALU_DEP_1) | instskip(NEXT) | instid1(VALU_DEP_1)
	v_max_i32_e32 v2, v0, v2
	v_mul_hi_u32 v3, v2, s50
	s_delay_alu instid0(VALU_DEP_1) | instskip(NEXT) | instid1(VALU_DEP_1)
	v_mul_lo_u32 v4, v3, s40
	v_sub_nc_u32_e32 v2, v2, v4
	v_add_nc_u32_e32 v4, 1, v3
	s_delay_alu instid0(VALU_DEP_2) | instskip(SKIP_2) | instid1(VALU_DEP_2)
	v_subrev_nc_u32_e32 v5, s40, v2
	v_cmp_le_u32_e32 vcc_lo, s40, v2
	s_wait_alu 0xfffd
	v_dual_cndmask_b32 v3, v3, v4 :: v_dual_cndmask_b32 v2, v2, v5
	v_ashrrev_i32_e32 v4, 31, v0
	s_delay_alu instid0(VALU_DEP_2) | instskip(NEXT) | instid1(VALU_DEP_3)
	v_add_nc_u32_e32 v5, 1, v3
	v_cmp_le_u32_e32 vcc_lo, s40, v2
	s_delay_alu instid0(VALU_DEP_3) | instskip(SKIP_1) | instid1(VALU_DEP_3)
	v_xor_b32_e32 v4, s47, v4
	s_wait_alu 0xfffd
	v_cndmask_b32_e32 v2, v3, v5, vcc_lo
	s_delay_alu instid0(VALU_DEP_1) | instskip(NEXT) | instid1(VALU_DEP_1)
	v_xor_b32_e32 v2, v2, v4
	v_sub_nc_u32_e32 v2, v2, v4
	s_delay_alu instid0(VALU_DEP_1) | instskip(NEXT) | instid1(VALU_DEP_1)
	v_sub_nc_u32_e32 v3, 0, v2
	v_max_i32_e32 v3, v2, v3
	s_delay_alu instid0(VALU_DEP_1) | instskip(NEXT) | instid1(VALU_DEP_1)
	v_mul_hi_u32 v4, v3, s51
	v_mul_lo_u32 v5, v4, s41
	s_delay_alu instid0(VALU_DEP_1) | instskip(SKIP_1) | instid1(VALU_DEP_2)
	v_sub_nc_u32_e32 v3, v3, v5
	v_add_nc_u32_e32 v5, 1, v4
	v_subrev_nc_u32_e32 v6, s41, v3
	v_cmp_le_u32_e32 vcc_lo, s41, v3
	s_wait_alu 0xfffd
	s_delay_alu instid0(VALU_DEP_2) | instskip(SKIP_1) | instid1(VALU_DEP_2)
	v_dual_cndmask_b32 v4, v4, v5 :: v_dual_cndmask_b32 v3, v3, v6
	v_ashrrev_i32_e32 v5, 31, v2
	v_add_nc_u32_e32 v6, 1, v4
	s_delay_alu instid0(VALU_DEP_3) | instskip(NEXT) | instid1(VALU_DEP_3)
	v_cmp_le_u32_e32 vcc_lo, s41, v3
	v_xor_b32_e32 v5, s48, v5
	s_wait_alu 0xfffd
	s_delay_alu instid0(VALU_DEP_3) | instskip(NEXT) | instid1(VALU_DEP_1)
	v_cndmask_b32_e32 v3, v4, v6, vcc_lo
	v_xor_b32_e32 v3, v3, v5
	s_delay_alu instid0(VALU_DEP_1) | instskip(NEXT) | instid1(VALU_DEP_1)
	v_sub_nc_u32_e32 v3, v3, v5
	v_sub_nc_u32_e32 v4, 0, v3
	s_delay_alu instid0(VALU_DEP_1) | instskip(NEXT) | instid1(VALU_DEP_1)
	v_max_i32_e32 v4, v3, v4
	v_mul_hi_u32 v5, v4, s52
	s_delay_alu instid0(VALU_DEP_1) | instskip(NEXT) | instid1(VALU_DEP_1)
	v_mul_lo_u32 v6, v5, s42
	v_sub_nc_u32_e32 v4, v4, v6
	v_add_nc_u32_e32 v6, 1, v5
	s_delay_alu instid0(VALU_DEP_2) | instskip(SKIP_2) | instid1(VALU_DEP_2)
	v_subrev_nc_u32_e32 v7, s42, v4
	v_cmp_le_u32_e32 vcc_lo, s42, v4
	s_wait_alu 0xfffd
	v_dual_cndmask_b32 v5, v5, v6 :: v_dual_cndmask_b32 v4, v4, v7
	v_ashrrev_i32_e32 v6, 31, v3
	s_delay_alu instid0(VALU_DEP_2) | instskip(NEXT) | instid1(VALU_DEP_3)
	v_add_nc_u32_e32 v7, 1, v5
	v_cmp_le_u32_e32 vcc_lo, s42, v4
	s_delay_alu instid0(VALU_DEP_3) | instskip(SKIP_1) | instid1(VALU_DEP_3)
	v_xor_b32_e32 v6, s49, v6
	s_wait_alu 0xfffd
	v_cndmask_b32_e32 v4, v5, v7, vcc_lo
	s_delay_alu instid0(VALU_DEP_1) | instskip(NEXT) | instid1(VALU_DEP_1)
	v_xor_b32_e32 v4, v4, v6
	v_sub_nc_u32_e32 v4, v4, v6
	s_delay_alu instid0(VALU_DEP_1) | instskip(NEXT) | instid1(VALU_DEP_1)
	v_sub_nc_u32_e32 v5, 0, v4
	v_max_i32_e32 v5, v4, v5
	s_delay_alu instid0(VALU_DEP_1) | instskip(NEXT) | instid1(VALU_DEP_1)
	v_mul_hi_u32 v6, v5, s53
	v_mul_lo_u32 v7, v6, s33
	s_delay_alu instid0(VALU_DEP_1) | instskip(SKIP_1) | instid1(VALU_DEP_2)
	v_sub_nc_u32_e32 v5, v5, v7
	v_add_nc_u32_e32 v7, 1, v6
	v_subrev_nc_u32_e32 v8, s33, v5
	v_cmp_le_u32_e32 vcc_lo, s33, v5
	s_wait_alu 0xfffd
	s_delay_alu instid0(VALU_DEP_2) | instskip(SKIP_1) | instid1(VALU_DEP_2)
	v_dual_cndmask_b32 v6, v6, v7 :: v_dual_cndmask_b32 v5, v5, v8
	v_ashrrev_i32_e32 v7, 31, v4
	v_add_nc_u32_e32 v8, 1, v6
	s_delay_alu instid0(VALU_DEP_3) | instskip(NEXT) | instid1(VALU_DEP_3)
	v_cmp_le_u32_e32 vcc_lo, s33, v5
	v_xor_b32_e32 v7, s38, v7
	s_wait_alu 0xfffd
	s_delay_alu instid0(VALU_DEP_3) | instskip(SKIP_2) | instid1(VALU_DEP_2)
	v_cndmask_b32_e32 v5, v6, v8, vcc_lo
	v_mul_lo_u32 v6, v3, s7
	s_and_not1_b32 vcc_lo, exec_lo, s24
	v_xor_b32_e32 v5, v5, v7
	s_delay_alu instid0(VALU_DEP_2) | instskip(NEXT) | instid1(VALU_DEP_2)
	v_sub_nc_u32_e32 v171, v2, v6
	v_sub_nc_u32_e32 v173, v5, v7
	v_mul_lo_u32 v5, v2, s20
	v_mul_lo_u32 v7, v4, s6
	s_delay_alu instid0(VALU_DEP_3) | instskip(NEXT) | instid1(VALU_DEP_3)
	v_mul_lo_u32 v8, v173, s5
	v_sub_nc_u32_e32 v170, v0, v5
	s_delay_alu instid0(VALU_DEP_3) | instskip(NEXT) | instid1(VALU_DEP_3)
	v_sub_nc_u32_e32 v172, v3, v7
	v_sub_nc_u32_e32 v174, v4, v8
	s_wait_alu 0xfffe
	s_cbranch_vccnz .LBB14_61
; %bb.5:                                ;   in Loop: Header=BB14_4 Depth=1
	s_delay_alu instid0(VALU_DEP_1) | instskip(SKIP_4) | instid1(VALU_DEP_3)
	v_mul_lo_u32 v175, v174, s8
	v_mul_lo_u32 v2, s30, v173
	v_add_nc_u32_e32 v39, s13, v171
	v_add_nc_u32_e32 v4, s14, v170
	;; [unrolled: 1-line block ×3, first 2 shown]
	v_cmp_gt_i32_e64 s0, s10, v39
	v_mul_lo_u32 v5, s39, v175
	v_ashrrev_i32_e32 v3, 31, v2
	v_or_b32_e32 v8, v4, v39
	v_subrev_nc_u32_e32 v57, s29, v4
	v_cmp_gt_i32_e32 vcc_lo, s9, v9
	v_subrev_nc_u32_e32 v59, s44, v4
	v_lshlrev_b64_e32 v[2:3], 3, v[2:3]
	v_subrev_nc_u32_e32 v46, s28, v39
	v_ashrrev_i32_e32 v6, 31, v5
	v_or_b32_e32 v11, v57, v39
	v_or_b32_e32 v13, v59, v39
	v_mul_lo_u32 v18, v9, s10
	v_add_co_u32 v177, s1, s26, v2
	v_lshlrev_b64_e32 v[5:6], 3, v[5:6]
	s_wait_alu 0xf1ff
	v_add_co_ci_u32_e64 v178, null, s27, v3, s1
	v_or_b32_e32 v10, v11, v9
	v_or_b32_e32 v14, v13, v9
	;; [unrolled: 1-line block ×3, first 2 shown]
	v_add_co_u32 v2, s1, s36, v5
	s_wait_alu 0xf1ff
	v_add_co_ci_u32_e64 v3, null, s37, v6, s1
	v_or_b32_e32 v6, v8, v9
	v_cmp_gt_i32_e64 s1, s11, v4
	v_cmp_lt_i32_e64 s3, -1, v10
	v_cmp_lt_i32_e64 s4, -1, v14
	v_or_b32_e32 v16, v15, v9
	v_cmp_lt_i32_e64 s2, -1, v6
	s_and_b32 s70, s1, s0
	v_or_b32_e32 v17, v57, v46
	v_add_nc_u32_e32 v14, v46, v18
	v_or_b32_e32 v19, v59, v46
	s_and_b32 s2, s70, s2
	v_subrev_nc_u32_e32 v51, s45, v39
	s_wait_alu 0xfffe
	s_and_b32 s55, s2, vcc_lo
	v_cmp_gt_i32_e64 s2, s11, v57
	v_mul_lo_u32 v20, v14, s11
	v_or_b32_e32 v21, v19, v9
	v_subrev_nc_u32_e32 v43, s46, v9
	v_or_b32_e32 v5, v4, v51
	s_and_b32 s71, s2, s0
	v_subrev_nc_u32_e32 v6, s15, v9
	s_and_b32 s3, s71, s3
	v_add_nc_u32_e32 v7, v39, v18
	s_wait_alu 0xfffe
	s_and_b32 s56, s3, vcc_lo
	v_cmp_gt_i32_e64 s3, s11, v59
	v_add_nc_u32_e32 v14, v4, v20
	v_or_b32_e32 v52, v19, v43
	v_or_b32_e32 v33, v19, v6
	v_add_nc_u32_e32 v19, v51, v18
	s_and_b32 s72, s3, s0
	v_cmp_gt_i32_e64 s0, s10, v46
	s_and_b32 s4, s72, s4
	v_add_nc_u32_e32 v18, v59, v20
	s_wait_alu 0xfffe
	s_and_b32 s57, s4, vcc_lo
	v_cmp_lt_i32_e64 s4, -1, v16
	v_or_b32_e32 v16, v17, v9
	s_and_b32 s73, s1, s0
	s_and_b32 s74, s2, s0
	;; [unrolled: 1-line block ×4, first 2 shown]
	v_or_b32_e32 v23, v57, v51
	s_wait_alu 0xfffe
	s_and_b32 s58, s4, vcc_lo
	v_cmp_lt_i32_e64 s4, -1, v16
	v_add_nc_u32_e32 v16, v57, v20
	v_or_b32_e32 v20, v5, v9
	v_cmp_gt_i32_e64 s0, s10, v51
	v_or_b32_e32 v22, v23, v9
	s_and_b32 s4, s74, s4
	v_or_b32_e32 v24, v59, v51
	s_wait_alu 0xfffe
	s_and_b32 s59, s4, vcc_lo
	v_cmp_lt_i32_e64 s4, -1, v21
	s_and_b32 s78, s1, s0
	s_and_b32 s77, s2, s0
	v_or_b32_e32 v9, v24, v9
	v_or_b32_e32 v25, v8, v6
	s_and_b32 s4, s75, s4
	s_and_b32 s76, s3, s0
	s_wait_alu 0xfffe
	s_and_b32 s60, s4, vcc_lo
	v_cmp_lt_i32_e64 s4, -1, v20
	v_or_b32_e32 v26, v11, v6
	v_cmp_lt_i32_e64 s0, -1, v25
	v_or_b32_e32 v27, v13, v6
	v_or_b32_e32 v29, v15, v6
	s_and_b32 s1, s78, s4
	v_or_b32_e32 v31, v17, v6
	s_wait_alu 0xfffe
	s_and_b32 s4, s1, vcc_lo
	v_cmp_lt_i32_e64 s1, -1, v22
	s_and_b32 s0, s70, s0
	v_or_b32_e32 v53, v5, v43
	v_or_b32_e32 v5, v5, v6
	v_mul_lo_u32 v34, v6, s10
	s_and_b32 s1, s77, s1
	v_or_b32_e32 v40, v23, v6
	s_wait_alu 0xfffe
	s_and_b32 s2, s1, vcc_lo
	v_cmp_lt_i32_e64 s1, -1, v9
	v_or_b32_e32 v41, v24, v6
	v_or_b32_e32 v44, v8, v43
	v_mul_lo_u32 v28, v19, s11
	v_add_nc_u32_e32 v9, v39, v34
	s_and_b32 s1, s76, s1
	v_or_b32_e32 v45, v11, v43
	s_wait_alu 0xfffe
	s_and_b32 s3, s1, vcc_lo
	v_cmp_gt_i32_e32 vcc_lo, s9, v6
	v_cmp_lt_i32_e64 s1, -1, v26
	v_mul_lo_u32 v9, v9, s11
	v_or_b32_e32 v47, v13, v43
	v_add_nc_u32_e32 v20, v4, v28
	s_and_b32 s61, s0, vcc_lo
	v_cmp_lt_i32_e64 s0, -1, v27
	s_and_b32 s1, s71, s1
	v_add_nc_u32_e32 v22, v57, v28
	s_wait_alu 0xfffe
	s_and_b32 s62, s1, vcc_lo
	v_or_b32_e32 v61, v24, v43
	s_and_b32 s1, s72, s0
	v_cmp_lt_i32_e64 s0, -1, v29
	s_wait_alu 0xfffe
	s_and_b32 s63, s1, vcc_lo
	v_cmp_lt_i32_e64 s1, -1, v31
	v_add_nc_u32_e32 v24, v59, v28
	v_add_nc_u32_e32 v26, v4, v9
	s_and_b32 s0, s73, s0
	v_add_nc_u32_e32 v6, v46, v34
	s_wait_alu 0xfffe
	s_and_b32 s64, s0, vcc_lo
	v_cmp_lt_i32_e64 s0, -1, v33
	s_and_b32 s1, s74, s1
	v_add_nc_u32_e32 v28, v57, v9
	s_wait_alu 0xfffe
	s_and_b32 s65, s1, vcc_lo
	v_add_nc_u32_e32 v30, v59, v9
	s_and_b32 s1, s75, s0
	v_cmp_lt_i32_e64 s0, -1, v5
	s_wait_alu 0xfffe
	s_and_b32 s66, s1, vcc_lo
	v_cmp_lt_i32_e64 s1, -1, v41
	v_add_nc_u32_e32 v9, v51, v34
	v_mul_lo_u32 v6, v6, s11
	s_and_b32 s0, s78, s0
	v_mul_lo_u32 v5, v43, s10
	s_wait_alu 0xfffe
	s_and_b32 s67, s0, vcc_lo
	v_cmp_lt_i32_e64 s0, -1, v40
	s_and_b32 s1, s76, s1
	v_mul_lo_u32 v9, v9, s11
	s_wait_alu 0xfffe
	s_and_b32 s69, s1, vcc_lo
	v_or_b32_e32 v49, v17, v43
	s_and_b32 s0, s77, s0
	v_add_nc_u32_e32 v32, v4, v6
	s_wait_alu 0xfffe
	s_and_b32 s68, s0, vcc_lo
	v_cmp_lt_i32_e64 s0, -1, v44
	v_cmp_gt_i32_e32 vcc_lo, s9, v43
	v_add_nc_u32_e32 v34, v57, v6
	v_add_nc_u32_e32 v36, v59, v6
	;; [unrolled: 1-line block ×3, first 2 shown]
	s_and_b32 s1, s70, s0
	v_cmp_lt_i32_e64 s0, -1, v45
	s_wait_alu 0xfffe
	s_and_b32 s70, s1, vcc_lo
	v_add_nc_u32_e32 v6, v39, v5
	v_add_nc_u32_e32 v40, v57, v9
	;; [unrolled: 1-line block ×3, first 2 shown]
	s_and_b32 s1, s71, s0
	v_cmp_lt_i32_e64 s0, -1, v47
	v_add_nc_u32_e32 v9, v46, v5
	v_add_nc_u32_e32 v5, v51, v5
	v_mul_lo_u32 v12, v7, s11
	v_mul_lo_u32 v6, v6, s11
	s_and_b32 s0, s72, s0
	v_mul_lo_u32 v9, v9, s11
	s_wait_alu 0xfffe
	s_and_b32 s72, s0, vcc_lo
	v_cmp_lt_i32_e64 s0, -1, v49
	v_mul_lo_u32 v5, v5, s11
	v_or_b32_e32 v48, v15, v43
	v_or_b32_e32 v58, v23, v43
	s_and_b32 s71, s1, vcc_lo
	s_and_b32 s0, s74, s0
	v_add_nc_u32_e32 v7, v4, v12
	s_wait_alu 0xfffe
	s_and_b32 s74, s0, vcc_lo
	v_cmp_lt_i32_e64 s0, -1, v52
	v_cmp_lt_i32_e64 s1, -1, v48
	v_add_nc_u32_e32 v10, v57, v12
	v_add_nc_u32_e32 v12, v59, v12
	;; [unrolled: 1-line block ×3, first 2 shown]
	s_and_b32 s0, s75, s0
	v_add_nc_u32_e32 v46, v57, v6
	v_add_nc_u32_e32 v48, v59, v6
	v_add_nc_u32_e32 v50, v4, v9
	v_add_nc_u32_e32 v52, v57, v9
	v_add_nc_u32_e32 v54, v59, v9
	s_wait_alu 0xfffe
	s_and_b32 s75, s0, vcc_lo
	v_add_nc_u32_e32 v56, v4, v5
	v_cmp_lt_i32_e64 s0, -1, v58
	v_add_nc_u32_e32 v58, v57, v5
	v_add_nc_u32_e32 v60, v59, v5
	s_and_b32 s1, s73, s1
	v_ashrrev_i32_e32 v8, 31, v7
	v_ashrrev_i32_e32 v11, 31, v10
	;; [unrolled: 1-line block ×21, first 2 shown]
	s_wait_alu 0xfffe
	s_and_b32 s73, s1, vcc_lo
	v_ashrrev_i32_e32 v51, 31, v50
	v_cmp_lt_i32_e64 s1, -1, v53
	v_ashrrev_i32_e32 v53, 31, v52
	v_ashrrev_i32_e32 v55, 31, v54
	;; [unrolled: 1-line block ×3, first 2 shown]
	s_and_b32 s77, s77, s0
	v_ashrrev_i32_e32 v59, 31, v58
	v_cmp_lt_i32_e64 s0, -1, v61
	v_ashrrev_i32_e32 v61, 31, v60
	v_mul_lo_u32 v6, s54, v174
	v_mov_b32_e32 v4, 0
	v_lshlrev_b64_e32 v[8:9], 3, v[7:8]
	v_lshlrev_b64_e32 v[10:11], 3, v[10:11]
	;; [unrolled: 1-line block ×27, first 2 shown]
	v_dual_mov_b32 v5, 0 :: v_dual_add_nc_u32 v176, s8, v175
	s_and_b32 s1, s78, s1
	s_and_b32 s0, s76, s0
	s_wait_alu 0xfffe
	s_and_b32 s1, s1, vcc_lo
	s_and_b32 s76, s77, vcc_lo
	;; [unrolled: 1-line block ×3, first 2 shown]
	s_mov_b32 s77, 0
	s_branch .LBB14_7
.LBB14_6:                               ;   in Loop: Header=BB14_7 Depth=2
	s_wait_alu 0xfffe
	s_or_b32 exec_lo, exec_lo, s0
	s_wait_loadcnt 0x1a
	v_fma_f64 v[4:5], v[62:63], v[64:65], v[4:5]
	v_add_nc_u32_e32 v175, 1, v175
	v_add_co_u32 v2, s0, 0xd8, v2
	s_wait_alu 0xf1ff
	v_add_co_ci_u32_e64 v3, null, 0, v3, s0
	s_delay_alu instid0(VALU_DEP_3)
	v_cmp_ge_i32_e32 vcc_lo, v175, v176
	v_add_nc_u32_e32 v6, s31, v6
	s_or_b32 s77, vcc_lo, s77
	s_wait_loadcnt 0x19
	v_fma_f64 v[4:5], v[66:67], v[70:71], v[4:5]
	s_wait_loadcnt 0x18
	s_delay_alu instid0(VALU_DEP_1) | instskip(SKIP_1) | instid1(VALU_DEP_1)
	v_fma_f64 v[4:5], v[72:73], v[68:69], v[4:5]
	s_wait_loadcnt 0x17
	v_fma_f64 v[4:5], v[74:75], v[78:79], v[4:5]
	s_wait_loadcnt 0x16
	s_delay_alu instid0(VALU_DEP_1) | instskip(SKIP_1) | instid1(VALU_DEP_1)
	v_fma_f64 v[4:5], v[80:81], v[76:77], v[4:5]
	;; [unrolled: 5-line block ×12, first 2 shown]
	s_wait_loadcnt 0x1
	v_fma_f64 v[4:5], v[162:163], v[166:167], v[4:5]
	s_wait_loadcnt 0x0
	s_delay_alu instid0(VALU_DEP_1)
	v_fma_f64 v[4:5], v[168:169], v[164:165], v[4:5]
	s_and_not1_b32 exec_lo, exec_lo, s77
	s_cbranch_execz .LBB14_2
.LBB14_7:                               ;   Parent Loop BB14_4 Depth=1
                                        ; =>  This Inner Loop Header: Depth=2
	global_load_b64 v[62:63], v[2:3], off
	v_ashrrev_i32_e32 v7, 31, v6
	v_mov_b32_e32 v64, 0
	v_mov_b32_e32 v65, 0
	s_delay_alu instid0(VALU_DEP_3) | instskip(NEXT) | instid1(VALU_DEP_1)
	v_lshlrev_b64_e32 v[66:67], 3, v[6:7]
	v_add_co_u32 v7, vcc_lo, v177, v66
	s_wait_alu 0xfffd
	s_delay_alu instid0(VALU_DEP_2)
	v_add_co_ci_u32_e64 v179, null, v178, v67, vcc_lo
	s_and_saveexec_b32 s0, s55
	s_cbranch_execz .LBB14_9
; %bb.8:                                ;   in Loop: Header=BB14_7 Depth=2
	v_add_co_u32 v64, vcc_lo, v7, v8
	s_wait_alu 0xfffd
	v_add_co_ci_u32_e64 v65, null, v179, v9, vcc_lo
	global_load_b64 v[64:65], v[64:65], off
.LBB14_9:                               ;   in Loop: Header=BB14_7 Depth=2
	s_wait_alu 0xfffe
	s_or_b32 exec_lo, exec_lo, s0
	global_load_b64 v[66:67], v[2:3], off offset:8
	v_mov_b32_e32 v68, 0
	v_dual_mov_b32 v69, 0 :: v_dual_mov_b32 v70, 0
	v_mov_b32_e32 v71, 0
	s_and_saveexec_b32 s0, s56
	s_cbranch_execz .LBB14_11
; %bb.10:                               ;   in Loop: Header=BB14_7 Depth=2
	v_add_co_u32 v70, vcc_lo, v7, v10
	s_wait_alu 0xfffd
	v_add_co_ci_u32_e64 v71, null, v179, v11, vcc_lo
	global_load_b64 v[70:71], v[70:71], off
.LBB14_11:                              ;   in Loop: Header=BB14_7 Depth=2
	s_wait_alu 0xfffe
	s_or_b32 exec_lo, exec_lo, s0
	global_load_b64 v[72:73], v[2:3], off offset:16
	s_and_saveexec_b32 s0, s57
	s_cbranch_execz .LBB14_13
; %bb.12:                               ;   in Loop: Header=BB14_7 Depth=2
	v_add_co_u32 v68, vcc_lo, v7, v12
	s_wait_alu 0xfffd
	v_add_co_ci_u32_e64 v69, null, v179, v13, vcc_lo
	global_load_b64 v[68:69], v[68:69], off
.LBB14_13:                              ;   in Loop: Header=BB14_7 Depth=2
	s_wait_alu 0xfffe
	s_or_b32 exec_lo, exec_lo, s0
	global_load_b64 v[74:75], v[2:3], off offset:24
	v_mov_b32_e32 v76, 0
	v_dual_mov_b32 v77, 0 :: v_dual_mov_b32 v78, 0
	v_mov_b32_e32 v79, 0
	s_and_saveexec_b32 s0, s58
	s_cbranch_execz .LBB14_15
; %bb.14:                               ;   in Loop: Header=BB14_7 Depth=2
	v_add_co_u32 v78, vcc_lo, v7, v14
	s_wait_alu 0xfffd
	v_add_co_ci_u32_e64 v79, null, v179, v15, vcc_lo
	global_load_b64 v[78:79], v[78:79], off
.LBB14_15:                              ;   in Loop: Header=BB14_7 Depth=2
	s_wait_alu 0xfffe
	s_or_b32 exec_lo, exec_lo, s0
	global_load_b64 v[80:81], v[2:3], off offset:32
	s_and_saveexec_b32 s0, s59
	s_cbranch_execz .LBB14_17
; %bb.16:                               ;   in Loop: Header=BB14_7 Depth=2
	v_add_co_u32 v76, vcc_lo, v7, v16
	s_wait_alu 0xfffd
	v_add_co_ci_u32_e64 v77, null, v179, v17, vcc_lo
	global_load_b64 v[76:77], v[76:77], off
.LBB14_17:                              ;   in Loop: Header=BB14_7 Depth=2
	;; [unrolled: 25-line block ×12, first 2 shown]
	s_wait_alu 0xfffe
	s_or_b32 exec_lo, exec_lo, s0
	global_load_b64 v[162:163], v[2:3], off offset:200
	v_mov_b32_e32 v164, 0
	v_dual_mov_b32 v165, 0 :: v_dual_mov_b32 v166, 0
	v_mov_b32_e32 v167, 0
	s_and_saveexec_b32 s0, s76
	s_cbranch_execz .LBB14_59
; %bb.58:                               ;   in Loop: Header=BB14_7 Depth=2
	v_add_co_u32 v166, vcc_lo, v7, v58
	s_wait_alu 0xfffd
	v_add_co_ci_u32_e64 v167, null, v179, v59, vcc_lo
	global_load_b64 v[166:167], v[166:167], off
.LBB14_59:                              ;   in Loop: Header=BB14_7 Depth=2
	s_wait_alu 0xfffe
	s_or_b32 exec_lo, exec_lo, s0
	global_load_b64 v[168:169], v[2:3], off offset:208
	s_and_saveexec_b32 s0, s78
	s_cbranch_execz .LBB14_6
; %bb.60:                               ;   in Loop: Header=BB14_7 Depth=2
	v_add_co_u32 v164, vcc_lo, v7, v60
	s_wait_alu 0xfffd
	v_add_co_ci_u32_e64 v165, null, v179, v61, vcc_lo
	global_load_b64 v[164:165], v[164:165], off
	s_branch .LBB14_6
.LBB14_61:                              ;   in Loop: Header=BB14_4 Depth=1
	v_mov_b32_e32 v4, 0
	v_mov_b32_e32 v5, 0
	s_branch .LBB14_3
.LBB14_62:
	s_nop 0
	s_sendmsg sendmsg(MSG_DEALLOC_VGPRS)
	s_endpgm
	.section	.rodata,"a",@progbits
	.p2align	6, 0x0
	.amdhsa_kernel _ZN2at6native12_GLOBAL__N_143conv_depthwise3d_cuda_backward_input_kernelIddLi3ELi3ELi3ELin1ELin1ELin1ELi1ELi1ELi1EEEvN5torch10headeronly6detail27GenericPackedTensorAccessorINS5_14TensorAccessorIN3c108ArrayRefIlEEKT_Lm4ENS4_16DefaultPtrTraitsEiEENS_6detail16IndexBoundsCheckILm5EiEESC_Lm5ESD_iEENS6_INS7_ISA_SB_Lm4ESD_iEESH_SB_Lm5ESD_iEESI_iiiiiiiii
		.amdhsa_group_segment_fixed_size 0
		.amdhsa_private_segment_fixed_size 0
		.amdhsa_kernarg_size 440
		.amdhsa_user_sgpr_count 2
		.amdhsa_user_sgpr_dispatch_ptr 0
		.amdhsa_user_sgpr_queue_ptr 0
		.amdhsa_user_sgpr_kernarg_segment_ptr 1
		.amdhsa_user_sgpr_dispatch_id 0
		.amdhsa_user_sgpr_private_segment_size 0
		.amdhsa_wavefront_size32 1
		.amdhsa_uses_dynamic_stack 0
		.amdhsa_enable_private_segment 0
		.amdhsa_system_sgpr_workgroup_id_x 1
		.amdhsa_system_sgpr_workgroup_id_y 0
		.amdhsa_system_sgpr_workgroup_id_z 0
		.amdhsa_system_sgpr_workgroup_info 0
		.amdhsa_system_vgpr_workitem_id 0
		.amdhsa_next_free_vgpr 180
		.amdhsa_next_free_sgpr 79
		.amdhsa_reserve_vcc 1
		.amdhsa_float_round_mode_32 0
		.amdhsa_float_round_mode_16_64 0
		.amdhsa_float_denorm_mode_32 3
		.amdhsa_float_denorm_mode_16_64 3
		.amdhsa_fp16_overflow 0
		.amdhsa_workgroup_processor_mode 1
		.amdhsa_memory_ordered 1
		.amdhsa_forward_progress 1
		.amdhsa_inst_pref_size 40
		.amdhsa_round_robin_scheduling 0
		.amdhsa_exception_fp_ieee_invalid_op 0
		.amdhsa_exception_fp_denorm_src 0
		.amdhsa_exception_fp_ieee_div_zero 0
		.amdhsa_exception_fp_ieee_overflow 0
		.amdhsa_exception_fp_ieee_underflow 0
		.amdhsa_exception_fp_ieee_inexact 0
		.amdhsa_exception_int_div_zero 0
	.end_amdhsa_kernel
	.section	.text._ZN2at6native12_GLOBAL__N_143conv_depthwise3d_cuda_backward_input_kernelIddLi3ELi3ELi3ELin1ELin1ELin1ELi1ELi1ELi1EEEvN5torch10headeronly6detail27GenericPackedTensorAccessorINS5_14TensorAccessorIN3c108ArrayRefIlEEKT_Lm4ENS4_16DefaultPtrTraitsEiEENS_6detail16IndexBoundsCheckILm5EiEESC_Lm5ESD_iEENS6_INS7_ISA_SB_Lm4ESD_iEESH_SB_Lm5ESD_iEESI_iiiiiiiii,"axG",@progbits,_ZN2at6native12_GLOBAL__N_143conv_depthwise3d_cuda_backward_input_kernelIddLi3ELi3ELi3ELin1ELin1ELin1ELi1ELi1ELi1EEEvN5torch10headeronly6detail27GenericPackedTensorAccessorINS5_14TensorAccessorIN3c108ArrayRefIlEEKT_Lm4ENS4_16DefaultPtrTraitsEiEENS_6detail16IndexBoundsCheckILm5EiEESC_Lm5ESD_iEENS6_INS7_ISA_SB_Lm4ESD_iEESH_SB_Lm5ESD_iEESI_iiiiiiiii,comdat
.Lfunc_end14:
	.size	_ZN2at6native12_GLOBAL__N_143conv_depthwise3d_cuda_backward_input_kernelIddLi3ELi3ELi3ELin1ELin1ELin1ELi1ELi1ELi1EEEvN5torch10headeronly6detail27GenericPackedTensorAccessorINS5_14TensorAccessorIN3c108ArrayRefIlEEKT_Lm4ENS4_16DefaultPtrTraitsEiEENS_6detail16IndexBoundsCheckILm5EiEESC_Lm5ESD_iEENS6_INS7_ISA_SB_Lm4ESD_iEESH_SB_Lm5ESD_iEESI_iiiiiiiii, .Lfunc_end14-_ZN2at6native12_GLOBAL__N_143conv_depthwise3d_cuda_backward_input_kernelIddLi3ELi3ELi3ELin1ELin1ELin1ELi1ELi1ELi1EEEvN5torch10headeronly6detail27GenericPackedTensorAccessorINS5_14TensorAccessorIN3c108ArrayRefIlEEKT_Lm4ENS4_16DefaultPtrTraitsEiEENS_6detail16IndexBoundsCheckILm5EiEESC_Lm5ESD_iEENS6_INS7_ISA_SB_Lm4ESD_iEESH_SB_Lm5ESD_iEESI_iiiiiiiii
                                        ; -- End function
	.set _ZN2at6native12_GLOBAL__N_143conv_depthwise3d_cuda_backward_input_kernelIddLi3ELi3ELi3ELin1ELin1ELin1ELi1ELi1ELi1EEEvN5torch10headeronly6detail27GenericPackedTensorAccessorINS5_14TensorAccessorIN3c108ArrayRefIlEEKT_Lm4ENS4_16DefaultPtrTraitsEiEENS_6detail16IndexBoundsCheckILm5EiEESC_Lm5ESD_iEENS6_INS7_ISA_SB_Lm4ESD_iEESH_SB_Lm5ESD_iEESI_iiiiiiiii.num_vgpr, 180
	.set _ZN2at6native12_GLOBAL__N_143conv_depthwise3d_cuda_backward_input_kernelIddLi3ELi3ELi3ELin1ELin1ELin1ELi1ELi1ELi1EEEvN5torch10headeronly6detail27GenericPackedTensorAccessorINS5_14TensorAccessorIN3c108ArrayRefIlEEKT_Lm4ENS4_16DefaultPtrTraitsEiEENS_6detail16IndexBoundsCheckILm5EiEESC_Lm5ESD_iEENS6_INS7_ISA_SB_Lm4ESD_iEESH_SB_Lm5ESD_iEESI_iiiiiiiii.num_agpr, 0
	.set _ZN2at6native12_GLOBAL__N_143conv_depthwise3d_cuda_backward_input_kernelIddLi3ELi3ELi3ELin1ELin1ELin1ELi1ELi1ELi1EEEvN5torch10headeronly6detail27GenericPackedTensorAccessorINS5_14TensorAccessorIN3c108ArrayRefIlEEKT_Lm4ENS4_16DefaultPtrTraitsEiEENS_6detail16IndexBoundsCheckILm5EiEESC_Lm5ESD_iEENS6_INS7_ISA_SB_Lm4ESD_iEESH_SB_Lm5ESD_iEESI_iiiiiiiii.numbered_sgpr, 79
	.set _ZN2at6native12_GLOBAL__N_143conv_depthwise3d_cuda_backward_input_kernelIddLi3ELi3ELi3ELin1ELin1ELin1ELi1ELi1ELi1EEEvN5torch10headeronly6detail27GenericPackedTensorAccessorINS5_14TensorAccessorIN3c108ArrayRefIlEEKT_Lm4ENS4_16DefaultPtrTraitsEiEENS_6detail16IndexBoundsCheckILm5EiEESC_Lm5ESD_iEENS6_INS7_ISA_SB_Lm4ESD_iEESH_SB_Lm5ESD_iEESI_iiiiiiiii.num_named_barrier, 0
	.set _ZN2at6native12_GLOBAL__N_143conv_depthwise3d_cuda_backward_input_kernelIddLi3ELi3ELi3ELin1ELin1ELin1ELi1ELi1ELi1EEEvN5torch10headeronly6detail27GenericPackedTensorAccessorINS5_14TensorAccessorIN3c108ArrayRefIlEEKT_Lm4ENS4_16DefaultPtrTraitsEiEENS_6detail16IndexBoundsCheckILm5EiEESC_Lm5ESD_iEENS6_INS7_ISA_SB_Lm4ESD_iEESH_SB_Lm5ESD_iEESI_iiiiiiiii.private_seg_size, 0
	.set _ZN2at6native12_GLOBAL__N_143conv_depthwise3d_cuda_backward_input_kernelIddLi3ELi3ELi3ELin1ELin1ELin1ELi1ELi1ELi1EEEvN5torch10headeronly6detail27GenericPackedTensorAccessorINS5_14TensorAccessorIN3c108ArrayRefIlEEKT_Lm4ENS4_16DefaultPtrTraitsEiEENS_6detail16IndexBoundsCheckILm5EiEESC_Lm5ESD_iEENS6_INS7_ISA_SB_Lm4ESD_iEESH_SB_Lm5ESD_iEESI_iiiiiiiii.uses_vcc, 1
	.set _ZN2at6native12_GLOBAL__N_143conv_depthwise3d_cuda_backward_input_kernelIddLi3ELi3ELi3ELin1ELin1ELin1ELi1ELi1ELi1EEEvN5torch10headeronly6detail27GenericPackedTensorAccessorINS5_14TensorAccessorIN3c108ArrayRefIlEEKT_Lm4ENS4_16DefaultPtrTraitsEiEENS_6detail16IndexBoundsCheckILm5EiEESC_Lm5ESD_iEENS6_INS7_ISA_SB_Lm4ESD_iEESH_SB_Lm5ESD_iEESI_iiiiiiiii.uses_flat_scratch, 0
	.set _ZN2at6native12_GLOBAL__N_143conv_depthwise3d_cuda_backward_input_kernelIddLi3ELi3ELi3ELin1ELin1ELin1ELi1ELi1ELi1EEEvN5torch10headeronly6detail27GenericPackedTensorAccessorINS5_14TensorAccessorIN3c108ArrayRefIlEEKT_Lm4ENS4_16DefaultPtrTraitsEiEENS_6detail16IndexBoundsCheckILm5EiEESC_Lm5ESD_iEENS6_INS7_ISA_SB_Lm4ESD_iEESH_SB_Lm5ESD_iEESI_iiiiiiiii.has_dyn_sized_stack, 0
	.set _ZN2at6native12_GLOBAL__N_143conv_depthwise3d_cuda_backward_input_kernelIddLi3ELi3ELi3ELin1ELin1ELin1ELi1ELi1ELi1EEEvN5torch10headeronly6detail27GenericPackedTensorAccessorINS5_14TensorAccessorIN3c108ArrayRefIlEEKT_Lm4ENS4_16DefaultPtrTraitsEiEENS_6detail16IndexBoundsCheckILm5EiEESC_Lm5ESD_iEENS6_INS7_ISA_SB_Lm4ESD_iEESH_SB_Lm5ESD_iEESI_iiiiiiiii.has_recursion, 0
	.set _ZN2at6native12_GLOBAL__N_143conv_depthwise3d_cuda_backward_input_kernelIddLi3ELi3ELi3ELin1ELin1ELin1ELi1ELi1ELi1EEEvN5torch10headeronly6detail27GenericPackedTensorAccessorINS5_14TensorAccessorIN3c108ArrayRefIlEEKT_Lm4ENS4_16DefaultPtrTraitsEiEENS_6detail16IndexBoundsCheckILm5EiEESC_Lm5ESD_iEENS6_INS7_ISA_SB_Lm4ESD_iEESH_SB_Lm5ESD_iEESI_iiiiiiiii.has_indirect_call, 0
	.section	.AMDGPU.csdata,"",@progbits
; Kernel info:
; codeLenInByte = 5000
; TotalNumSgprs: 81
; NumVgprs: 180
; ScratchSize: 0
; MemoryBound: 0
; FloatMode: 240
; IeeeMode: 1
; LDSByteSize: 0 bytes/workgroup (compile time only)
; SGPRBlocks: 0
; VGPRBlocks: 22
; NumSGPRsForWavesPerEU: 81
; NumVGPRsForWavesPerEU: 180
; Occupancy: 8
; WaveLimiterHint : 0
; COMPUTE_PGM_RSRC2:SCRATCH_EN: 0
; COMPUTE_PGM_RSRC2:USER_SGPR: 2
; COMPUTE_PGM_RSRC2:TRAP_HANDLER: 0
; COMPUTE_PGM_RSRC2:TGID_X_EN: 1
; COMPUTE_PGM_RSRC2:TGID_Y_EN: 0
; COMPUTE_PGM_RSRC2:TGID_Z_EN: 0
; COMPUTE_PGM_RSRC2:TIDIG_COMP_CNT: 0
	.section	.text._ZN2at6native12_GLOBAL__N_143conv_depthwise3d_cuda_backward_input_kernelIddLi3ELi3ELi3ELin1ELin1ELin1ELin1ELin1ELin1EEEvN5torch10headeronly6detail27GenericPackedTensorAccessorINS5_14TensorAccessorIN3c108ArrayRefIlEEKT_Lm4ENS4_16DefaultPtrTraitsEiEENS_6detail16IndexBoundsCheckILm5EiEESC_Lm5ESD_iEENS6_INS7_ISA_SB_Lm4ESD_iEESH_SB_Lm5ESD_iEESI_iiiiiiiii,"axG",@progbits,_ZN2at6native12_GLOBAL__N_143conv_depthwise3d_cuda_backward_input_kernelIddLi3ELi3ELi3ELin1ELin1ELin1ELin1ELin1ELin1EEEvN5torch10headeronly6detail27GenericPackedTensorAccessorINS5_14TensorAccessorIN3c108ArrayRefIlEEKT_Lm4ENS4_16DefaultPtrTraitsEiEENS_6detail16IndexBoundsCheckILm5EiEESC_Lm5ESD_iEENS6_INS7_ISA_SB_Lm4ESD_iEESH_SB_Lm5ESD_iEESI_iiiiiiiii,comdat
	.globl	_ZN2at6native12_GLOBAL__N_143conv_depthwise3d_cuda_backward_input_kernelIddLi3ELi3ELi3ELin1ELin1ELin1ELin1ELin1ELin1EEEvN5torch10headeronly6detail27GenericPackedTensorAccessorINS5_14TensorAccessorIN3c108ArrayRefIlEEKT_Lm4ENS4_16DefaultPtrTraitsEiEENS_6detail16IndexBoundsCheckILm5EiEESC_Lm5ESD_iEENS6_INS7_ISA_SB_Lm4ESD_iEESH_SB_Lm5ESD_iEESI_iiiiiiiii ; -- Begin function _ZN2at6native12_GLOBAL__N_143conv_depthwise3d_cuda_backward_input_kernelIddLi3ELi3ELi3ELin1ELin1ELin1ELin1ELin1ELin1EEEvN5torch10headeronly6detail27GenericPackedTensorAccessorINS5_14TensorAccessorIN3c108ArrayRefIlEEKT_Lm4ENS4_16DefaultPtrTraitsEiEENS_6detail16IndexBoundsCheckILm5EiEESC_Lm5ESD_iEENS6_INS7_ISA_SB_Lm4ESD_iEESH_SB_Lm5ESD_iEESI_iiiiiiiii
	.p2align	8
	.type	_ZN2at6native12_GLOBAL__N_143conv_depthwise3d_cuda_backward_input_kernelIddLi3ELi3ELi3ELin1ELin1ELin1ELin1ELin1ELin1EEEvN5torch10headeronly6detail27GenericPackedTensorAccessorINS5_14TensorAccessorIN3c108ArrayRefIlEEKT_Lm4ENS4_16DefaultPtrTraitsEiEENS_6detail16IndexBoundsCheckILm5EiEESC_Lm5ESD_iEENS6_INS7_ISA_SB_Lm4ESD_iEESH_SB_Lm5ESD_iEESI_iiiiiiiii,@function
_ZN2at6native12_GLOBAL__N_143conv_depthwise3d_cuda_backward_input_kernelIddLi3ELi3ELi3ELin1ELin1ELin1ELin1ELin1ELin1EEEvN5torch10headeronly6detail27GenericPackedTensorAccessorINS5_14TensorAccessorIN3c108ArrayRefIlEEKT_Lm4ENS4_16DefaultPtrTraitsEiEENS_6detail16IndexBoundsCheckILm5EiEESC_Lm5ESD_iEENS6_INS7_ISA_SB_Lm4ESD_iEESH_SB_Lm5ESD_iEESI_iiiiiiiii: ; @_ZN2at6native12_GLOBAL__N_143conv_depthwise3d_cuda_backward_input_kernelIddLi3ELi3ELi3ELin1ELin1ELin1ELin1ELin1ELin1EEEvN5torch10headeronly6detail27GenericPackedTensorAccessorINS5_14TensorAccessorIN3c108ArrayRefIlEEKT_Lm4ENS4_16DefaultPtrTraitsEiEENS_6detail16IndexBoundsCheckILm5EiEESC_Lm5ESD_iEENS6_INS7_ISA_SB_Lm4ESD_iEESH_SB_Lm5ESD_iEESI_iiiiiiiii
; %bb.0:
	s_clause 0x2
	s_load_b128 s[44:47], s[0:1], 0x38
	s_load_b32 s2, s[0:1], 0xc4
	s_load_b64 s[64:65], s[0:1], 0x48
	v_mov_b32_e32 v1, 0
                                        ; implicit-def: $vgpr180 : SGPR spill to VGPR lane
	s_wait_kmcnt 0x0
	s_abs_i32 s78, s45
	s_and_b32 s2, s2, 0xffff
	s_cvt_f32_u32 s3, s78
	v_mad_co_u64_u32 v[0:1], null, s2, ttmp9, v[0:1]
	s_mul_i32 s4, s65, s44
	s_delay_alu instid0(SALU_CYCLE_1) | instskip(SKIP_4) | instid1(TRANS32_DEP_1)
	v_rcp_iflag_f32_e32 v2, s3
	s_ashr_i32 s5, s4, 31
	v_writelane_b32 v180, s4, 0
	v_cmp_gt_i64_e32 vcc_lo, s[4:5], v[0:1]
	v_writelane_b32 v180, s5, 1
	v_readfirstlane_b32 s3, v2
	s_and_saveexec_b32 s4, vcc_lo
	s_cbranch_execz .LBB15_62
; %bb.1:
	s_clause 0x1
	s_load_b128 s[56:59], s[0:1], 0xc
	s_load_b64 s[6:7], s[0:1], 0x0
	s_mul_f32 s3, s3, 0x4f7ffffe
	s_sub_co_i32 s8, 0, s78
	s_load_b32 s11, s[0:1], 0x7c
	s_mov_b32 s69, 0
	s_cvt_u32_f32 s3, s3
	s_mov_b32 s5, s69
	s_ashr_i32 s71, s45, 31
	s_wait_alu 0xfffe
	s_mul_i32 s4, s8, s3
	s_wait_alu 0xfffe
	s_mul_hi_u32 s4, s3, s4
	s_wait_alu 0xfffe
	s_add_co_i32 s4, s3, s4
	s_wait_kmcnt 0x0
	s_abs_i32 s68, s56
	v_writelane_b32 v180, s6, 2
	s_wait_alu 0xfffe
	s_mul_u64 s[4:5], s[68:69], s[4:5]
	s_ashr_i32 s4, s56, 31
	s_wait_alu 0xfffe
	s_xor_b32 s4, s4, s71
	v_writelane_b32 v180, s7, 3
	s_add_nc_u64 s[6:7], s[0:1], 0xb8
	s_clause 0x1
	s_load_b256 s[48:55], s[0:1], 0x90
	s_load_b32 s10, s[0:1], 0xb0
	s_load_b32 s3, s[6:7], 0x0
	s_mul_i32 s6, s5, s78
	s_add_co_i32 s7, s5, 1
	s_wait_alu 0xfffe
	s_sub_co_i32 s6, s68, s6
	v_writelane_b32 v180, s11, 4
	s_wait_alu 0xfffe
	s_sub_co_i32 s9, s6, s78
	s_cmp_ge_u32 s6, s78
	s_clause 0x1
	s_load_b64 s[72:73], s[0:1], 0x1c
	s_load_b64 s[74:75], s[0:1], 0x30
	s_cselect_b32 s5, s7, s5
	s_cselect_b32 s6, s9, s6
	s_wait_alu 0xfffe
	s_add_co_i32 s7, s5, 1
	s_cmp_ge_u32 s6, s78
	s_clause 0x1
	s_load_b64 s[76:77], s[0:1], 0x60
	s_load_b128 s[60:63], s[0:1], 0x50
	s_cselect_b32 s5, s7, s5
	v_readfirstlane_b32 s6, v2
	s_wait_alu 0xfffe
	s_xor_b32 s5, s5, s4
	s_wait_alu 0xfffe
	s_sub_co_i32 s68, s5, s4
	s_delay_alu instid0(SALU_CYCLE_1)
	s_cmp_gt_i32 s68, 0
	s_wait_kmcnt 0x0
	s_mul_i32 s1, s3, s2
	s_mul_f32 s0, s6, 0x4f7ffffe
	s_wait_alu 0xfffe
	v_writelane_b32 v180, s1, 5
	s_cselect_b32 s1, -1, 0
	s_abs_i32 s86, s64
	s_abs_i32 s87, s47
	;; [unrolled: 1-line block ×3, first 2 shown]
	s_wait_alu 0xfffe
	v_writelane_b32 v180, s1, 6
	s_lshl_b32 s1, s10, 1
	s_cvt_f32_u32 s2, s87
	s_cvt_f32_u32 s3, s88
	s_ashr_i32 s4, s64, 31
	v_writelane_b32 v180, s10, 7
	s_wait_alu 0xfffe
	v_rcp_iflag_f32_e32 v3, s2
	v_rcp_iflag_f32_e32 v4, s3
	s_abs_i32 s92, s48
	s_sub_co_i32 s2, 0, s87
	v_writelane_b32 v180, s1, 8
	s_lshl_b32 s1, s55, 1
	s_cvt_f32_u32 s7, s92
	s_abs_i32 s93, s49
	s_abs_i32 s94, s50
	s_wait_alu 0xfffe
	v_writelane_b32 v180, s1, 9
	s_lshl_b32 s1, s54, 1
	v_readfirstlane_b32 s5, v4
	s_sub_co_i32 s6, 0, s88
	s_cvt_u32_f32 s0, s0
	s_wait_alu 0xfffe
	v_writelane_b32 v180, s1, 10
	s_cvt_f32_u32 s1, s86
	s_mul_f32 s5, s5, 0x4f7ffffe
	s_mul_i32 s8, s8, s0
	s_ashr_i32 s99, s48, 31
	s_wait_alu 0xfffe
	v_rcp_iflag_f32_e32 v2, s1
	v_writelane_b32 v180, s4, 11
	s_ashr_i32 s1, s47, 31
	v_readfirstlane_b32 s4, v3
	s_cvt_u32_f32 s5, s5
	s_ashr_i32 s101, s49, 31
	s_wait_alu 0xfffe
	v_writelane_b32 v180, s1, 12
	s_ashr_i32 s1, s46, 31
	s_mul_f32 s4, s4, 0x4f7ffffe
	s_mul_i32 s6, s6, s5
	v_readfirstlane_b32 s3, v2
	s_wait_alu 0xfffe
	v_writelane_b32 v180, s1, 13
	s_sub_co_i32 s1, 0, s86
	v_rcp_iflag_f32_e32 v2, s7
	s_cvt_u32_f32 s4, s4
	s_mul_f32 s3, s3, 0x4f7ffffe
	s_cvt_f32_u32 s7, s93
	s_ashr_i32 s103, s50, 31
	s_wait_alu 0xfffe
	s_mul_i32 s2, s2, s4
	s_cvt_u32_f32 s3, s3
	s_wait_alu 0xfffe
	s_mul_hi_u32 s2, s4, s2
	s_delay_alu instid0(SALU_CYCLE_1)
	s_mul_i32 s1, s1, s3
	s_wait_alu 0xfffe
	s_mul_hi_u32 s1, s3, s1
	s_wait_alu 0xfffe
	s_add_co_i32 s1, s3, s1
	s_mul_hi_u32 s3, s5, s6
	s_wait_alu 0xfffe
	v_writelane_b32 v180, s1, 14
	s_add_co_i32 s1, s4, s2
	s_cvt_f32_u32 s2, s94
	s_wait_alu 0xfffe
	v_writelane_b32 v180, s1, 15
	v_readfirstlane_b32 s1, v2
	v_rcp_iflag_f32_e32 v2, s7
	v_rcp_iflag_f32_e32 v3, s2
	s_add_co_i32 s2, s5, s3
	s_sub_co_i32 s3, 0, s92
	s_mul_f32 s1, s1, 0x4f7ffffe
	s_wait_alu 0xfffe
	v_writelane_b32 v180, s2, 16
	s_mul_hi_u32 s2, s0, s8
	s_cvt_u32_f32 s1, s1
	s_wait_alu 0xfffe
	s_add_co_i32 s0, s0, s2
	v_readfirstlane_b32 s4, v2
	s_wait_alu 0xfffe
	v_writelane_b32 v180, s0, 17
	v_readfirstlane_b32 s0, v3
	s_mul_i32 s3, s3, s1
	s_wait_alu 0xfffe
	s_mul_hi_u32 s2, s1, s3
	s_mul_f32 s3, s4, 0x4f7ffffe
	s_mul_f32 s0, s0, 0x4f7ffffe
	s_wait_alu 0xfffe
	s_add_co_i32 s100, s1, s2
	s_sub_co_i32 s2, 0, s93
	s_cvt_u32_f32 s1, s3
	s_cvt_u32_f32 s0, s0
	s_sub_co_i32 s3, 0, s94
	s_wait_alu 0xfffe
	s_mul_i32 s2, s2, s1
	s_mul_i32 s3, s3, s0
	s_wait_alu 0xfffe
	s_mul_hi_u32 s2, s1, s2
	s_wait_alu 0xfffe
	s_add_co_i32 s102, s1, s2
	s_mul_hi_u32 s1, s0, s3
	s_wait_alu 0xfffe
	s_add_co_i32 s104, s0, s1
	s_branch .LBB15_4
.LBB15_2:                               ;   in Loop: Header=BB15_4 Depth=1
	s_or_b32 exec_lo, exec_lo, s38
.LBB15_3:                               ;   in Loop: Header=BB15_4 Depth=1
	v_mul_lo_u32 v2, v173, s65
	v_mul_lo_u32 v4, s60, v174
	;; [unrolled: 1-line block ×3, first 2 shown]
	v_readlane_b32 s0, v180, 5
	v_mul_lo_u32 v8, s62, v171
	v_mul_lo_u32 v10, s63, v170
	s_wait_alu 0xf1ff
	s_delay_alu instid0(VALU_DEP_3)
	v_add_co_u32 v0, vcc_lo, v0, s0
	v_ashrrev_i32_e32 v3, 31, v2
	v_ashrrev_i32_e32 v5, 31, v4
	;; [unrolled: 1-line block ×3, first 2 shown]
	s_wait_alu 0xfffd
	v_add_co_ci_u32_e64 v1, null, 0, v1, vcc_lo
	v_lshlrev_b64_e32 v[2:3], 3, v[2:3]
	v_lshlrev_b64_e32 v[4:5], 3, v[4:5]
	v_ashrrev_i32_e32 v9, 31, v8
	v_ashrrev_i32_e32 v11, 31, v10
	v_readlane_b32 s0, v180, 0
	v_readlane_b32 s1, v180, 1
	v_add_co_u32 v12, vcc_lo, s74, v2
	s_wait_alu 0xfffd
	v_add_co_ci_u32_e64 v13, null, s75, v3, vcc_lo
	v_lshlrev_b64_e32 v[2:3], 3, v[6:7]
	s_delay_alu instid0(VALU_DEP_3) | instskip(SKIP_1) | instid1(VALU_DEP_3)
	v_add_co_u32 v6, vcc_lo, v12, v4
	s_wait_alu 0xfffd
	v_add_co_ci_u32_e64 v7, null, v13, v5, vcc_lo
	v_lshlrev_b64_e32 v[4:5], 3, v[8:9]
	s_delay_alu instid0(VALU_DEP_3) | instskip(SKIP_1) | instid1(VALU_DEP_3)
	;; [unrolled: 5-line block ×3, first 2 shown]
	v_add_co_u32 v4, vcc_lo, v6, v4
	s_wait_alu 0xfffd
	v_add_co_ci_u32_e64 v5, null, v7, v5, vcc_lo
	s_wait_alu 0xf1ff
	v_cmp_le_i64_e32 vcc_lo, s[0:1], v[0:1]
	v_add_co_u32 v2, s0, v4, v2
	s_wait_alu 0xf1ff
	v_add_co_ci_u32_e64 v3, null, v5, v3, s0
	s_or_b32 s69, vcc_lo, s69
	global_store_b64 v[2:3], v[60:61], off
	s_wait_alu 0xfffe
	s_and_not1_b32 exec_lo, exec_lo, s69
	s_cbranch_execz .LBB15_62
.LBB15_4:                               ; =>This Loop Header: Depth=1
                                        ;     Child Loop BB15_7 Depth 2
	v_sub_nc_u32_e32 v2, 0, v0
	v_readlane_b32 s0, v180, 14
	s_delay_alu instid0(VALU_DEP_2) | instskip(SKIP_1) | instid1(VALU_DEP_1)
	v_max_i32_e32 v2, v0, v2
	s_wait_alu 0xf1ff
	v_mul_hi_u32 v3, v2, s0
	v_readlane_b32 s0, v180, 11
	s_delay_alu instid0(VALU_DEP_2) | instskip(NEXT) | instid1(VALU_DEP_1)
	v_mul_lo_u32 v4, v3, s86
	v_sub_nc_u32_e32 v2, v2, v4
	v_add_nc_u32_e32 v4, 1, v3
	s_delay_alu instid0(VALU_DEP_2) | instskip(SKIP_2) | instid1(VALU_DEP_2)
	v_subrev_nc_u32_e32 v5, s86, v2
	v_cmp_le_u32_e32 vcc_lo, s86, v2
	s_wait_alu 0xfffd
	v_dual_cndmask_b32 v3, v3, v4 :: v_dual_cndmask_b32 v2, v2, v5
	v_ashrrev_i32_e32 v4, 31, v0
	s_delay_alu instid0(VALU_DEP_2) | instskip(NEXT) | instid1(VALU_DEP_3)
	v_add_nc_u32_e32 v5, 1, v3
	v_cmp_le_u32_e32 vcc_lo, s86, v2
	s_wait_alu 0xf1ff
	s_delay_alu instid0(VALU_DEP_3) | instskip(SKIP_3) | instid1(VALU_DEP_1)
	v_xor_b32_e32 v4, s0, v4
	v_readlane_b32 s0, v180, 15
	s_wait_alu 0xfffd
	v_cndmask_b32_e32 v2, v3, v5, vcc_lo
	v_xor_b32_e32 v2, v2, v4
	s_delay_alu instid0(VALU_DEP_1) | instskip(NEXT) | instid1(VALU_DEP_1)
	v_sub_nc_u32_e32 v2, v2, v4
	v_sub_nc_u32_e32 v3, 0, v2
	s_delay_alu instid0(VALU_DEP_1) | instskip(SKIP_1) | instid1(VALU_DEP_1)
	v_max_i32_e32 v3, v2, v3
	s_wait_alu 0xf1ff
	v_mul_hi_u32 v4, v3, s0
	v_readlane_b32 s0, v180, 12
	s_delay_alu instid0(VALU_DEP_2) | instskip(NEXT) | instid1(VALU_DEP_1)
	v_mul_lo_u32 v5, v4, s87
	v_sub_nc_u32_e32 v3, v3, v5
	v_add_nc_u32_e32 v5, 1, v4
	s_delay_alu instid0(VALU_DEP_2) | instskip(SKIP_2) | instid1(VALU_DEP_2)
	v_subrev_nc_u32_e32 v6, s87, v3
	v_cmp_le_u32_e32 vcc_lo, s87, v3
	s_wait_alu 0xfffd
	v_dual_cndmask_b32 v4, v4, v5 :: v_dual_cndmask_b32 v3, v3, v6
	v_ashrrev_i32_e32 v5, 31, v2
	s_delay_alu instid0(VALU_DEP_2) | instskip(NEXT) | instid1(VALU_DEP_3)
	v_add_nc_u32_e32 v6, 1, v4
	v_cmp_le_u32_e32 vcc_lo, s87, v3
	s_wait_alu 0xf1ff
	s_delay_alu instid0(VALU_DEP_3) | instskip(SKIP_3) | instid1(VALU_DEP_1)
	v_xor_b32_e32 v5, s0, v5
	v_readlane_b32 s0, v180, 16
	s_wait_alu 0xfffd
	v_cndmask_b32_e32 v3, v4, v6, vcc_lo
	v_xor_b32_e32 v3, v3, v5
	s_delay_alu instid0(VALU_DEP_1) | instskip(NEXT) | instid1(VALU_DEP_1)
	v_sub_nc_u32_e32 v3, v3, v5
	v_sub_nc_u32_e32 v4, 0, v3
	s_delay_alu instid0(VALU_DEP_1) | instskip(SKIP_1) | instid1(VALU_DEP_1)
	;; [unrolled: 28-line block ×3, first 2 shown]
	v_max_i32_e32 v5, v4, v5
	s_wait_alu 0xf1ff
	v_mul_hi_u32 v6, v5, s0
	v_readlane_b32 s0, v180, 6
	s_delay_alu instid0(VALU_DEP_2) | instskip(NEXT) | instid1(VALU_DEP_1)
	v_mul_lo_u32 v7, v6, s78
	v_sub_nc_u32_e32 v5, v5, v7
	v_add_nc_u32_e32 v7, 1, v6
	s_delay_alu instid0(VALU_DEP_2) | instskip(SKIP_2) | instid1(VALU_DEP_2)
	v_subrev_nc_u32_e32 v8, s78, v5
	v_cmp_le_u32_e32 vcc_lo, s78, v5
	s_wait_alu 0xfffd
	v_dual_cndmask_b32 v6, v6, v7 :: v_dual_cndmask_b32 v5, v5, v8
	v_ashrrev_i32_e32 v7, 31, v4
	s_delay_alu instid0(VALU_DEP_2) | instskip(NEXT) | instid1(VALU_DEP_3)
	v_add_nc_u32_e32 v8, 1, v6
	v_cmp_le_u32_e32 vcc_lo, s78, v5
	s_delay_alu instid0(VALU_DEP_3) | instskip(SKIP_1) | instid1(VALU_DEP_3)
	v_xor_b32_e32 v7, s71, v7
	s_wait_alu 0xfffd
	v_cndmask_b32_e32 v5, v6, v8, vcc_lo
	v_mul_lo_u32 v6, v3, s47
	s_and_not1_b32 vcc_lo, exec_lo, s0
	s_delay_alu instid0(VALU_DEP_2) | instskip(NEXT) | instid1(VALU_DEP_2)
	v_xor_b32_e32 v5, v5, v7
	v_sub_nc_u32_e32 v171, v2, v6
	s_delay_alu instid0(VALU_DEP_2) | instskip(SKIP_2) | instid1(VALU_DEP_3)
	v_sub_nc_u32_e32 v173, v5, v7
	v_mul_lo_u32 v5, v2, s64
	v_mul_lo_u32 v7, v4, s46
	;; [unrolled: 1-line block ×3, first 2 shown]
	s_delay_alu instid0(VALU_DEP_3) | instskip(NEXT) | instid1(VALU_DEP_3)
	v_sub_nc_u32_e32 v170, v0, v5
	v_sub_nc_u32_e32 v172, v3, v7
	s_delay_alu instid0(VALU_DEP_3)
	v_sub_nc_u32_e32 v174, v4, v8
	s_wait_alu 0xfffe
	s_cbranch_vccnz .LBB15_61
; %bb.5:                                ;   in Loop: Header=BB15_4 Depth=1
	v_add_nc_u32_e32 v5, s53, v170
	s_delay_alu instid0(VALU_DEP_2)
	v_mul_lo_u32 v175, v174, s68
	v_readlane_b32 s0, v180, 4
	v_add_nc_u32_e32 v10, s52, v171
	v_readlane_b32 s1, v180, 9
	v_sub_nc_u32_e32 v2, 0, v5
	v_readlane_b32 s5, v180, 10
	v_add_nc_u32_e32 v178, s68, v175
	s_delay_alu instid0(VALU_DEP_3) | instskip(NEXT) | instid1(VALU_DEP_1)
	v_max_i32_e32 v2, v5, v2
	v_mul_hi_u32 v3, v2, s104
	s_delay_alu instid0(VALU_DEP_1) | instskip(NEXT) | instid1(VALU_DEP_1)
	v_mul_lo_u32 v4, v3, s94
	v_sub_nc_u32_e32 v2, v2, v4
	v_add_nc_u32_e32 v4, 1, v3
	s_delay_alu instid0(VALU_DEP_2) | instskip(SKIP_2) | instid1(VALU_DEP_2)
	v_subrev_nc_u32_e32 v6, s94, v2
	v_cmp_le_u32_e32 vcc_lo, s94, v2
	s_wait_alu 0xfffd
	v_dual_cndmask_b32 v6, v2, v6 :: v_dual_cndmask_b32 v3, v3, v4
	v_ashrrev_i32_e32 v4, 31, v5
	s_wait_alu 0xf1ff
	v_mul_lo_u32 v2, s0, v175
	v_readlane_b32 s0, v180, 7
	v_cmp_le_u32_e32 vcc_lo, s94, v6
	v_add_nc_u32_e32 v7, 1, v3
	v_xor_b32_e32 v4, s103, v4
	s_wait_alu 0xfffd
	s_delay_alu instid0(VALU_DEP_2) | instskip(SKIP_3) | instid1(VALU_DEP_3)
	v_cndmask_b32_e32 v3, v3, v7, vcc_lo
	s_wait_alu 0xf1ff
	v_subrev_nc_u32_e32 v7, s0, v5
	v_readlane_b32 s0, v180, 8
	v_xor_b32_e32 v6, v3, v4
	s_delay_alu instid0(VALU_DEP_3) | instskip(SKIP_1) | instid1(VALU_DEP_3)
	v_sub_nc_u32_e32 v9, 0, v7
	s_wait_alu 0xf1ff
	v_subrev_nc_u32_e32 v8, s0, v5
	v_ashrrev_i32_e32 v3, 31, v2
	v_sub_nc_u32_e32 v4, v6, v4
	v_max_i32_e32 v6, v7, v9
	s_delay_alu instid0(VALU_DEP_4) | instskip(NEXT) | instid1(VALU_DEP_4)
	v_sub_nc_u32_e32 v11, 0, v8
	v_lshlrev_b64_e32 v[2:3], 3, v[2:3]
	v_subrev_nc_u32_e32 v9, s55, v10
	v_mul_lo_u32 v12, v4, s50
	v_mul_hi_u32 v13, v6, s104
	v_max_i32_e32 v11, v8, v11
	v_cmp_gt_i32_e64 s42, s59, v4
	v_add_co_u32 v2, vcc_lo, s76, v2
	v_sub_nc_u32_e32 v14, 0, v9
	s_wait_alu 0xfffd
	v_add_co_ci_u32_e64 v3, null, s77, v3, vcc_lo
	v_mul_hi_u32 v15, v11, s104
	v_cmp_eq_u32_e32 vcc_lo, v12, v5
	v_mul_lo_u32 v5, v13, s94
	v_max_i32_e32 v12, v9, v14
	s_delay_alu instid0(VALU_DEP_4) | instskip(NEXT) | instid1(VALU_DEP_3)
	v_mul_lo_u32 v14, v15, s94
	v_sub_nc_u32_e32 v5, v6, v5
	s_delay_alu instid0(VALU_DEP_3) | instskip(NEXT) | instid1(VALU_DEP_2)
	v_mul_hi_u32 v6, v12, s102
	v_cmp_le_u32_e64 s0, s94, v5
	s_delay_alu instid0(VALU_DEP_4) | instskip(NEXT) | instid1(VALU_DEP_3)
	v_sub_nc_u32_e32 v11, v11, v14
	v_mul_lo_u32 v14, v6, s93
	s_delay_alu instid0(VALU_DEP_1) | instskip(SKIP_2) | instid1(VALU_DEP_1)
	v_sub_nc_u32_e32 v12, v12, v14
	v_add_nc_u32_e32 v14, 1, v13
	s_wait_alu 0xf1ff
	v_cndmask_b32_e64 v13, v13, v14, s0
	v_subrev_nc_u32_e32 v14, s94, v5
	s_delay_alu instid0(VALU_DEP_1) | instskip(SKIP_3) | instid1(VALU_DEP_1)
	v_cndmask_b32_e64 v5, v5, v14, s0
	v_subrev_nc_u32_e32 v14, s94, v11
	v_cmp_le_u32_e64 s0, s94, v11
	s_wait_alu 0xf1ff
	v_cndmask_b32_e64 v11, v11, v14, s0
	v_add_nc_u32_e32 v14, 1, v15
	s_delay_alu instid0(VALU_DEP_1) | instskip(SKIP_3) | instid1(VALU_DEP_1)
	v_cndmask_b32_e64 v14, v15, v14, s0
	v_subrev_nc_u32_e32 v15, s93, v12
	v_cmp_le_u32_e64 s0, s93, v12
	s_wait_alu 0xf1ff
	v_cndmask_b32_e64 v12, v12, v15, s0
	v_add_nc_u32_e32 v15, 1, v6
	s_delay_alu instid0(VALU_DEP_1) | instskip(SKIP_4) | instid1(VALU_DEP_2)
	v_cndmask_b32_e64 v15, v6, v15, s0
	v_add_nc_u32_e32 v6, 1, v13
	v_cmp_le_u32_e64 s0, s94, v5
	v_sub_nc_u32_e32 v5, 0, v10
	s_wait_alu 0xf1ff
	v_cndmask_b32_e64 v6, v13, v6, s0
	v_cmp_le_u32_e64 s0, s94, v11
	v_ashrrev_i32_e32 v11, 31, v7
	v_add_nc_u32_e32 v13, 1, v14
	v_max_i32_e32 v16, v10, v5
	s_delay_alu instid0(VALU_DEP_3) | instskip(SKIP_1) | instid1(VALU_DEP_3)
	v_xor_b32_e32 v5, s103, v11
	s_wait_alu 0xf1ff
	v_cndmask_b32_e64 v11, v14, v13, s0
	s_delay_alu instid0(VALU_DEP_3) | instskip(SKIP_2) | instid1(VALU_DEP_1)
	v_mul_hi_u32 v13, v16, s102
	v_cmp_le_u32_e64 s0, s93, v12
	v_xor_b32_e32 v6, v6, v5
	v_sub_nc_u32_e32 v5, v6, v5
	s_delay_alu instid0(VALU_DEP_4) | instskip(NEXT) | instid1(VALU_DEP_2)
	v_mul_lo_u32 v6, v13, s93
	v_cmp_gt_i32_e64 s43, s59, v5
	s_delay_alu instid0(VALU_DEP_2) | instskip(SKIP_1) | instid1(VALU_DEP_2)
	v_sub_nc_u32_e32 v14, v16, v6
	v_ashrrev_i32_e32 v6, 31, v8
	v_subrev_nc_u32_e32 v12, s93, v14
	s_delay_alu instid0(VALU_DEP_2) | instskip(NEXT) | instid1(VALU_DEP_1)
	v_xor_b32_e32 v6, s103, v6
	v_xor_b32_e32 v11, v11, v6
	s_delay_alu instid0(VALU_DEP_1) | instskip(SKIP_1) | instid1(VALU_DEP_2)
	v_sub_nc_u32_e32 v6, v11, v6
	v_add_nc_u32_e32 v11, 1, v15
	v_cmp_gt_i32_e64 s44, s59, v6
	s_wait_alu 0xf1ff
	s_delay_alu instid0(VALU_DEP_2) | instskip(SKIP_3) | instid1(VALU_DEP_1)
	v_cndmask_b32_e64 v11, v15, v11, s0
	v_add_nc_u32_e32 v15, 1, v13
	v_cmp_le_u32_e64 s0, s93, v14
	s_wait_alu 0xf1ff
	v_cndmask_b32_e64 v12, v14, v12, s0
	v_ashrrev_i32_e32 v14, 31, v9
	v_cndmask_b32_e64 v13, v13, v15, s0
	v_mul_lo_u32 v15, v5, s50
	s_delay_alu instid0(VALU_DEP_3) | instskip(NEXT) | instid1(VALU_DEP_3)
	v_xor_b32_e32 v14, s101, v14
	v_add_nc_u32_e32 v16, 1, v13
	s_delay_alu instid0(VALU_DEP_3) | instskip(SKIP_1) | instid1(VALU_DEP_4)
	v_cmp_eq_u32_e64 s0, v15, v7
	v_subrev_nc_u32_e32 v15, s1, v10
	v_xor_b32_e32 v11, v11, v14
	v_cmp_le_u32_e64 s1, s93, v12
	s_delay_alu instid0(VALU_DEP_3) | instskip(NEXT) | instid1(VALU_DEP_3)
	v_sub_nc_u32_e32 v12, 0, v15
	v_sub_nc_u32_e32 v7, v11, v14
	v_mul_lo_u32 v11, v6, s50
	v_ashrrev_i32_e32 v14, 31, v10
	s_wait_alu 0xf1ff
	v_cndmask_b32_e64 v13, v13, v16, s1
	v_max_i32_e32 v12, v15, v12
	v_cmp_gt_i32_e64 s37, s58, v7
	v_xor_b32_e32 v14, s101, v14
	v_cmp_eq_u32_e64 s1, v11, v8
	s_delay_alu instid0(VALU_DEP_4)
	v_mul_hi_u32 v11, v12, s102
	s_and_b32 s98, s42, s37
	v_xor_b32_e32 v8, v13, v14
	v_mul_lo_u32 v13, v7, s49
	s_and_b32 s66, s43, s37
	s_and_b32 s67, s44, s37
	s_delay_alu instid0(VALU_DEP_2) | instskip(NEXT) | instid1(VALU_DEP_4)
	v_sub_nc_u32_e32 v8, v8, v14
	v_mul_lo_u32 v14, v11, s93
	s_delay_alu instid0(VALU_DEP_3) | instskip(NEXT) | instid1(VALU_DEP_3)
	v_cmp_eq_u32_e64 s3, v13, v9
	v_mul_lo_u32 v9, v8, s49
	v_add_nc_u32_e32 v13, s51, v172
	v_cmp_gt_i32_e64 s39, s58, v8
	v_sub_nc_u32_e32 v12, v12, v14
	v_add_nc_u32_e32 v14, 1, v11
	s_and_b32 s89, s42, s39
	v_cmp_eq_u32_e64 s9, v9, v10
	s_delay_alu instid0(VALU_DEP_3)
	v_subrev_nc_u32_e32 v9, s93, v12
	v_subrev_nc_u32_e32 v10, s54, v13
	v_cmp_le_u32_e64 s2, s93, v12
	s_and_b32 s90, s43, s39
	s_and_b32 s91, s44, s39
	v_cndmask_b32_e64 v9, v12, v9, s2
	v_sub_nc_u32_e32 v12, 0, v10
	v_cndmask_b32_e64 v11, v11, v14, s2
	s_delay_alu instid0(VALU_DEP_3) | instskip(NEXT) | instid1(VALU_DEP_3)
	v_cmp_le_u32_e64 s2, s93, v9
	v_max_i32_e32 v12, v10, v12
	s_delay_alu instid0(VALU_DEP_3) | instskip(NEXT) | instid1(VALU_DEP_2)
	v_add_nc_u32_e32 v14, 1, v11
	v_mul_hi_u32 v16, v12, s100
	s_wait_alu 0xf1ff
	s_delay_alu instid0(VALU_DEP_2) | instskip(NEXT) | instid1(VALU_DEP_2)
	v_cndmask_b32_e64 v9, v11, v14, s2
	v_mul_lo_u32 v11, v16, s92
	s_delay_alu instid0(VALU_DEP_1) | instskip(SKIP_1) | instid1(VALU_DEP_2)
	v_sub_nc_u32_e32 v11, v12, v11
	v_ashrrev_i32_e32 v12, 31, v15
	v_cmp_le_u32_e64 s2, s92, v11
	s_delay_alu instid0(VALU_DEP_2) | instskip(NEXT) | instid1(VALU_DEP_1)
	v_xor_b32_e32 v12, s101, v12
	v_xor_b32_e32 v9, v9, v12
	s_delay_alu instid0(VALU_DEP_1) | instskip(SKIP_1) | instid1(VALU_DEP_2)
	v_sub_nc_u32_e32 v9, v9, v12
	v_subrev_nc_u32_e32 v12, s92, v11
	v_mul_lo_u32 v14, v9, s49
	s_wait_alu 0xf1ff
	s_delay_alu instid0(VALU_DEP_2) | instskip(SKIP_2) | instid1(VALU_DEP_3)
	v_cndmask_b32_e64 v11, v11, v12, s2
	v_add_nc_u32_e32 v12, 1, v16
	v_cmp_gt_i32_e64 s36, s58, v9
	v_cmp_le_u32_e64 s4, s92, v11
	s_delay_alu instid0(VALU_DEP_3)
	v_cndmask_b32_e64 v12, v16, v12, s2
	v_cmp_eq_u32_e64 s2, v14, v15
	v_sub_nc_u32_e32 v15, 0, v13
	v_ashrrev_i32_e32 v11, 31, v10
	s_and_b32 s97, s42, s36
	v_add_nc_u32_e32 v14, 1, v12
	s_and_b32 s96, s43, s36
	v_max_i32_e32 v15, v13, v15
	v_xor_b32_e32 v11, s99, v11
	s_and_b32 s95, s44, s36
	v_cndmask_b32_e64 v12, v12, v14, s4
	s_delay_alu instid0(VALU_DEP_3) | instskip(NEXT) | instid1(VALU_DEP_2)
	v_mul_hi_u32 v14, v15, s100
	v_xor_b32_e32 v12, v12, v11
	s_delay_alu instid0(VALU_DEP_1) | instskip(NEXT) | instid1(VALU_DEP_3)
	v_sub_nc_u32_e32 v12, v12, v11
	v_mul_lo_u32 v11, v14, s92
	s_delay_alu instid0(VALU_DEP_2) | instskip(NEXT) | instid1(VALU_DEP_2)
	v_cmp_gt_i32_e64 s33, s57, v12
	v_sub_nc_u32_e32 v11, v15, v11
	v_mul_lo_u32 v15, v12, s48
	s_delay_alu instid0(VALU_DEP_2) | instskip(NEXT) | instid1(VALU_DEP_2)
	v_cmp_le_u32_e64 s4, s92, v11
	v_cmp_eq_u32_e64 s20, v15, v10
	v_subrev_nc_u32_e32 v10, s92, v11
	v_subrev_nc_u32_e32 v15, s5, v13
	s_and_b32 s81, s20, s3
	s_delay_alu instid0(VALU_DEP_2) | instskip(SKIP_2) | instid1(VALU_DEP_1)
	v_cndmask_b32_e64 v10, v11, v10, s4
	v_add_nc_u32_e32 v11, 1, v14
	s_and_b32 s70, s20, s2
	v_cndmask_b32_e64 v11, v14, v11, s4
	v_sub_nc_u32_e32 v14, 0, v15
	v_cmp_le_u32_e64 s4, s92, v10
	s_delay_alu instid0(VALU_DEP_2) | instskip(NEXT) | instid1(VALU_DEP_1)
	v_max_i32_e32 v14, v15, v14
	v_mul_hi_u32 v16, v14, s100
	s_delay_alu instid0(VALU_DEP_1) | instskip(NEXT) | instid1(VALU_DEP_1)
	v_mul_lo_u32 v17, v16, s92
	v_sub_nc_u32_e32 v14, v14, v17
	v_add_nc_u32_e32 v17, 1, v11
	s_wait_alu 0xf1ff
	s_delay_alu instid0(VALU_DEP_1) | instskip(NEXT) | instid1(VALU_DEP_3)
	v_cndmask_b32_e64 v10, v11, v17, s4
	v_subrev_nc_u32_e32 v11, s92, v14
	v_cmp_le_u32_e64 s4, s92, v14
	s_wait_alu 0xf1ff
	s_delay_alu instid0(VALU_DEP_1) | instskip(SKIP_1) | instid1(VALU_DEP_1)
	v_cndmask_b32_e64 v11, v14, v11, s4
	v_add_nc_u32_e32 v14, 1, v16
	v_cndmask_b32_e64 v14, v16, v14, s4
	v_ashrrev_i32_e32 v16, 31, v13
	s_delay_alu instid0(VALU_DEP_4) | instskip(SKIP_1) | instid1(VALU_DEP_3)
	v_cmp_le_u32_e64 s4, s92, v11
	v_ashrrev_i32_e32 v11, 31, v15
	v_xor_b32_e32 v16, s99, v16
	s_delay_alu instid0(VALU_DEP_2) | instskip(NEXT) | instid1(VALU_DEP_2)
	v_xor_b32_e32 v11, s99, v11
	v_xor_b32_e32 v10, v10, v16
	s_delay_alu instid0(VALU_DEP_1) | instskip(SKIP_1) | instid1(VALU_DEP_2)
	v_sub_nc_u32_e32 v16, v10, v16
	v_add_nc_u32_e32 v10, 1, v14
	v_cmp_gt_i32_e64 s35, s57, v16
	s_wait_alu 0xf1ff
	s_delay_alu instid0(VALU_DEP_2) | instskip(SKIP_2) | instid1(VALU_DEP_3)
	v_cndmask_b32_e64 v10, v14, v10, s4
	v_readlane_b32 s4, v180, 2
	v_readlane_b32 s5, v180, 3
	v_xor_b32_e32 v10, v10, v11
	s_delay_alu instid0(VALU_DEP_1) | instskip(SKIP_1) | instid1(VALU_DEP_2)
	v_sub_nc_u32_e32 v14, v10, v11
	v_mul_lo_u32 v10, v16, s48
	v_cmp_gt_i32_e64 s28, s57, v14
	s_delay_alu instid0(VALU_DEP_2) | instskip(SKIP_2) | instid1(VALU_DEP_1)
	v_cmp_eq_u32_e64 s11, v10, v13
	v_mul_lo_u32 v10, v14, s48
	s_and_b32 s79, s11, s9
	v_cmp_eq_u32_e64 s27, v10, v15
	v_mul_lo_u32 v10, s72, v173
	s_delay_alu instid0(VALU_DEP_1) | instskip(NEXT) | instid1(VALU_DEP_1)
	v_ashrrev_i32_e32 v11, 31, v10
	v_lshlrev_b64_e32 v[10:11], 3, v[10:11]
	s_delay_alu instid0(VALU_DEP_1) | instskip(SKIP_2) | instid1(VALU_DEP_3)
	v_add_co_u32 v176, s4, s4, v10
	v_or_b32_e32 v10, v4, v8
	s_wait_alu 0xf1ff
	v_add_co_ci_u32_e64 v177, null, s5, v11, s4
	s_delay_alu instid0(VALU_DEP_2) | instskip(NEXT) | instid1(VALU_DEP_1)
	v_or_b32_e32 v11, v10, v16
	v_cmp_lt_i32_e64 s6, -1, v11
	v_or_b32_e32 v11, v5, v8
	s_wait_alu 0xfffe
	s_and_b32 s6, s89, s6
	s_delay_alu instid0(VALU_DEP_1) | instskip(SKIP_2) | instid1(VALU_DEP_1)
	v_or_b32_e32 v13, v11, v16
	s_wait_alu 0xfffe
	s_and_b32 vcc_hi, s6, s35
	v_cmp_lt_i32_e64 s4, -1, v13
	v_or_b32_e32 v13, v6, v8
	s_and_b32 s6, s90, s4
	s_delay_alu instid0(VALU_DEP_1) | instskip(SKIP_3) | instid1(VALU_DEP_1)
	v_or_b32_e32 v15, v13, v16
	s_wait_alu 0xfffe
	s_and_b32 s56, s6, s35
	s_and_b32 s4, s79, vcc_lo
	v_cmp_lt_i32_e64 s5, -1, v15
	v_or_b32_e32 v15, v4, v7
	s_and_b32 s6, s91, s5
	s_delay_alu instid0(VALU_DEP_1)
	v_or_b32_e32 v17, v15, v16
	s_and_b32 s5, s79, s0
	s_wait_alu 0xfffe
	s_and_b32 s39, s6, s35
	s_and_b32 s6, s79, s1
	s_and_b32 s79, s11, s3
	v_cmp_lt_i32_e64 s10, -1, v17
	v_or_b32_e32 v17, v5, v7
	s_and_b32 s10, s98, s10
	s_delay_alu instid0(VALU_DEP_1) | instskip(SKIP_2) | instid1(VALU_DEP_1)
	v_or_b32_e32 v18, v17, v16
	s_wait_alu 0xfffe
	s_and_b32 s83, s10, s35
	v_cmp_lt_i32_e64 s7, -1, v18
	v_or_b32_e32 v18, v6, v7
	s_and_b32 s10, s66, s7
	s_delay_alu instid0(VALU_DEP_1) | instskip(SKIP_3) | instid1(VALU_DEP_1)
	v_or_b32_e32 v19, v18, v16
	s_wait_alu 0xfffe
	s_and_b32 s84, s10, s35
	s_and_b32 s7, s79, vcc_lo
	v_cmp_lt_i32_e64 s8, -1, v19
	v_or_b32_e32 v19, v4, v9
	s_and_b32 s10, s67, s8
	s_delay_alu instid0(VALU_DEP_1)
	v_or_b32_e32 v20, v19, v16
	s_and_b32 s8, s79, s0
	s_wait_alu 0xfffe
	s_and_b32 s37, s10, s35
	s_and_b32 s10, s79, s1
	;; [unrolled: 1-line block ×3, first 2 shown]
	v_cmp_lt_i32_e64 s31, -1, v20
	v_or_b32_e32 v20, v5, v9
	s_wait_alu 0xfffe
	s_and_b32 s11, s79, vcc_lo
	s_and_b32 s2, s27, s2
	s_and_b32 s31, s97, s31
	v_or_b32_e32 v21, v20, v16
	s_and_b32 s31, s31, s35
	s_delay_alu instid0(VALU_DEP_1) | instskip(SKIP_2) | instid1(VALU_DEP_1)
	v_cmp_lt_i32_e64 s12, -1, v21
	v_or_b32_e32 v21, v6, v9
	s_and_b32 s12, s96, s12
	v_or_b32_e32 v22, v21, v16
	s_wait_alu 0xfffe
	s_and_b32 s42, s12, s35
	s_and_b32 s12, s79, s0
	s_delay_alu instid0(VALU_DEP_1) | instskip(SKIP_3) | instid1(VALU_DEP_2)
	v_cmp_lt_i32_e64 s13, -1, v22
	v_or_b32_e32 v22, v10, v12
	v_or_b32_e32 v10, v10, v14
	s_and_b32 s13, s95, s13
	v_cmp_lt_i32_e64 s16, -1, v22
	v_or_b32_e32 v22, v11, v12
	s_delay_alu instid0(VALU_DEP_3)
	v_cmp_lt_i32_e64 s23, -1, v10
	v_or_b32_e32 v10, v11, v14
	v_mul_lo_u32 v11, v12, s58
	s_and_b32 s16, s89, s16
	v_cmp_lt_i32_e64 s14, -1, v22
	v_or_b32_e32 v22, v13, v12
	v_cmp_lt_i32_e64 s24, -1, v10
	v_or_b32_e32 v10, v13, v14
	s_wait_alu 0xfffe
	s_and_b32 s36, s16, s33
	s_and_b32 s16, s90, s14
	v_cmp_lt_i32_e64 s15, -1, v22
	v_or_b32_e32 v22, v15, v12
	v_cmp_lt_i32_e64 s26, -1, v10
	v_or_b32_e32 v10, v15, v14
	v_add_nc_u32_e32 v13, v8, v11
	s_and_b32 s35, s13, s35
	v_cmp_lt_i32_e64 s19, -1, v22
	v_or_b32_e32 v22, v17, v12
	v_cmp_lt_i32_e64 s29, -1, v10
	v_or_b32_e32 v10, v17, v14
	v_or_b32_e32 v17, v19, v14
	v_mul_lo_u32 v13, v13, s59
	v_cmp_lt_i32_e64 s17, -1, v22
	v_or_b32_e32 v22, v18, v12
	v_cmp_lt_i32_e64 s30, -1, v10
	v_mul_lo_u32 v10, v16, s58
	v_or_b32_e32 v16, v18, v14
	v_or_b32_e32 v18, v20, v14
	v_cmp_lt_i32_e64 s18, -1, v22
	v_or_b32_e32 v22, v19, v12
	v_or_b32_e32 v19, v21, v14
	v_cmp_lt_i32_e64 s34, -1, v16
	v_cmp_lt_i32_e64 s40, -1, v18
	v_add_nc_u32_e32 v15, v7, v10
	v_cmp_lt_i32_e64 s25, -1, v22
	v_or_b32_e32 v22, v20, v12
	v_mul_lo_u32 v20, v14, s58
	v_add_nc_u32_e32 v14, v9, v10
	v_mul_lo_u32 v15, v15, s59
	s_and_b32 s19, s98, s19
	v_cmp_lt_i32_e64 s22, -1, v22
	v_or_b32_e32 v22, v21, v12
	v_add_nc_u32_e32 v21, v8, v10
	v_add_nc_u32_e32 v12, v7, v11
	v_add_nc_u32_e32 v11, v9, v11
	v_add_nc_u32_e32 v10, v8, v20
	v_add_nc_u32_e32 v8, v9, v20
	v_mul_lo_u32 v9, v21, s59
	v_add_nc_u32_e32 v7, v7, v20
	v_mul_lo_u32 v11, v11, s59
	s_wait_alu 0xfffe
	s_and_b32 s85, s19, s33
	v_mul_lo_u32 v8, v8, s59
	s_and_b32 s19, s66, s17
	v_mul_lo_u32 v7, v7, s59
	s_and_b32 s13, s79, s1
	v_add_nc_u32_e32 v16, v4, v9
	v_add_nc_u32_e32 v18, v5, v9
	v_add_nc_u32_e32 v20, v6, v9
	v_mul_lo_u32 v9, v14, s59
	s_and_b32 s79, s20, s9
	s_and_b32 s43, s16, s33
	;; [unrolled: 1-line block ×3, first 2 shown]
	s_wait_alu 0xfffe
	s_and_b32 s80, s19, s33
	s_and_b32 s19, s67, s18
	;; [unrolled: 1-line block ×3, first 2 shown]
	v_add_nc_u32_e32 v48, v6, v11
	v_add_nc_u32_e32 v26, v4, v9
	;; [unrolled: 1-line block ×4, first 2 shown]
	v_mul_lo_u32 v9, v12, s59
	s_and_b32 s23, s89, s23
	v_add_nc_u32_e32 v58, v5, v7
	v_cmp_lt_i32_e64 s21, -1, v22
	v_add_nc_u32_e32 v22, v4, v15
	v_add_nc_u32_e32 v24, v5, v15
	v_add_nc_u32_e32 v14, v6, v15
	v_add_nc_u32_e32 v32, v4, v13
	v_add_nc_u32_e32 v38, v4, v9
	v_add_nc_u32_e32 v40, v5, v9
	v_add_nc_u32_e32 v42, v6, v9
	v_mul_lo_u32 v9, v10, s59
	s_and_b32 s14, s79, vcc_lo
	v_add_nc_u32_e32 v34, v5, v13
	s_and_b32 s15, s79, s0
	s_and_b32 s44, s16, s33
	v_add_nc_u32_e32 v36, v6, v13
	s_and_b32 s16, s79, s1
	s_and_b32 s17, s81, vcc_lo
	s_and_b32 s18, s81, s0
	s_wait_alu 0xfffe
	s_and_b32 s79, s19, s33
	s_and_b32 s19, s81, s1
	;; [unrolled: 1-line block ×3, first 2 shown]
	v_add_nc_u32_e32 v44, v4, v11
	v_add_nc_u32_e32 v46, v5, v11
	s_and_b32 s25, s27, s9
	s_and_b32 s89, s23, s28
	v_add_nc_u32_e32 v50, v4, v9
	s_and_b32 s23, s90, s24
	v_add_nc_u32_e32 v52, v5, v9
	;; [unrolled: 2-line block ×3, first 2 shown]
	v_add_nc_u32_e32 v56, v4, v7
	v_add_nc_u32_e32 v60, v6, v7
	;; [unrolled: 1-line block ×5, first 2 shown]
	s_and_b32 s22, s96, s22
	s_wait_alu 0xfffe
	s_and_b32 s9, s25, vcc_lo
	s_and_b32 s90, s23, s28
	s_and_b32 s23, s25, s0
	s_and_b32 s91, s24, s28
	s_and_b32 s24, s25, s1
	s_and_b32 s25, s98, s29
	v_cmp_lt_i32_e64 s41, -1, v19
	v_ashrrev_i32_e32 v19, 31, v18
	v_ashrrev_i32_e32 v29, 31, v28
	;; [unrolled: 1-line block ×5, first 2 shown]
	s_and_b32 s82, s22, s33
	s_and_b32 s22, s95, s21
	;; [unrolled: 1-line block ×3, first 2 shown]
	s_wait_alu 0xfffe
	s_and_b32 s29, s25, s28
	s_and_b32 s25, s66, s30
	v_cmp_lt_i32_e64 s38, -1, v17
	v_ashrrev_i32_e32 v17, 31, v16
	v_ashrrev_i32_e32 v21, 31, v20
	;; [unrolled: 1-line block ×22, first 2 shown]
	s_and_b32 s20, s70, vcc_lo
	s_and_b32 s21, s70, s0
	s_and_b32 s33, s22, s33
	;; [unrolled: 1-line block ×3, first 2 shown]
	s_and_b32 s3, s26, vcc_lo
	s_wait_alu 0xfffe
	s_and_b32 s30, s25, s28
	s_and_b32 s25, s26, s0
	;; [unrolled: 1-line block ×3, first 2 shown]
	s_and_b32 vcc_lo, s2, vcc_lo
	s_and_b32 s0, s2, s0
	s_and_b32 s1, s2, s1
	s_mul_i32 s2, s73, s68
	v_lshlrev_b64_e32 v[6:7], 3, v[18:19]
	v_lshlrev_b64_e32 v[18:19], 3, v[28:29]
	;; [unrolled: 1-line block ×5, first 2 shown]
	s_wait_alu 0xfffe
	v_mul_lo_u32 v58, s2, v174
	v_lshlrev_b64_e32 v[4:5], 3, v[16:17]
	v_lshlrev_b64_e32 v[8:9], 3, v[20:21]
	;; [unrolled: 1-line block ×22, first 2 shown]
	v_mov_b32_e32 v60, 0
	v_mov_b32_e32 v61, 0
	s_and_b32 s34, s67, s34
	s_and_b32 s66, s97, s38
	;; [unrolled: 1-line block ×5, first 2 shown]
	s_mov_b32 s38, 0
	s_and_b32 s27, s66, s28
	s_and_b32 s40, s40, s28
	;; [unrolled: 1-line block ×3, first 2 shown]
	s_branch .LBB15_7
.LBB15_6:                               ;   in Loop: Header=BB15_7 Depth=2
	s_or_b32 exec_lo, exec_lo, s41
	s_wait_loadcnt 0x1a
	v_fma_f64 v[62:63], v[62:63], v[64:65], v[60:61]
	v_add_nc_u32_e32 v175, 1, v175
	v_add_co_u32 v2, s2, 0xd8, v2
	s_wait_alu 0xf1ff
	v_add_co_ci_u32_e64 v3, null, 0, v3, s2
	s_delay_alu instid0(VALU_DEP_3)
	v_cmp_ge_i32_e64 s2, v175, v178
	v_add_nc_u32_e32 v58, s73, v58
	s_or_b32 s38, s2, s38
	v_cndmask_b32_e64 v61, v61, v63, s4
	v_cndmask_b32_e64 v60, v60, v62, s4
	s_wait_loadcnt 0x19
	s_delay_alu instid0(VALU_DEP_1) | instskip(NEXT) | instid1(VALU_DEP_1)
	v_fma_f64 v[62:63], v[66:67], v[70:71], v[60:61]
	v_cndmask_b32_e64 v61, v61, v63, s5
	s_delay_alu instid0(VALU_DEP_2) | instskip(SKIP_1) | instid1(VALU_DEP_1)
	v_cndmask_b32_e64 v60, v60, v62, s5
	s_wait_loadcnt 0x18
	v_fma_f64 v[62:63], v[72:73], v[68:69], v[60:61]
	s_delay_alu instid0(VALU_DEP_1) | instskip(NEXT) | instid1(VALU_DEP_2)
	v_cndmask_b32_e64 v61, v61, v63, s6
	v_cndmask_b32_e64 v60, v60, v62, s6
	s_wait_loadcnt 0x17
	s_delay_alu instid0(VALU_DEP_1) | instskip(NEXT) | instid1(VALU_DEP_1)
	v_fma_f64 v[62:63], v[74:75], v[78:79], v[60:61]
	v_cndmask_b32_e64 v61, v61, v63, s7
	s_delay_alu instid0(VALU_DEP_2) | instskip(SKIP_1) | instid1(VALU_DEP_1)
	v_cndmask_b32_e64 v60, v60, v62, s7
	s_wait_loadcnt 0x16
	v_fma_f64 v[62:63], v[80:81], v[76:77], v[60:61]
	s_delay_alu instid0(VALU_DEP_1) | instskip(NEXT) | instid1(VALU_DEP_2)
	;; [unrolled: 11-line block ×11, first 2 shown]
	v_cndmask_b32_e64 v61, v61, v63, s25
	v_cndmask_b32_e64 v60, v60, v62, s25
	s_wait_loadcnt 0x3
	s_delay_alu instid0(VALU_DEP_1) | instskip(NEXT) | instid1(VALU_DEP_1)
	v_fma_f64 v[62:63], v[154:155], v[158:159], v[60:61]
	v_cndmask_b32_e64 v61, v61, v63, s26
	s_delay_alu instid0(VALU_DEP_2) | instskip(SKIP_1) | instid1(VALU_DEP_1)
	v_cndmask_b32_e64 v60, v60, v62, s26
	s_wait_loadcnt 0x2
	v_fma_f64 v[62:63], v[160:161], v[156:157], v[60:61]
	s_delay_alu instid0(VALU_DEP_1) | instskip(SKIP_1) | instid1(VALU_DEP_1)
	v_dual_cndmask_b32 v61, v61, v63 :: v_dual_cndmask_b32 v60, v60, v62
	s_wait_loadcnt 0x1
	v_fma_f64 v[62:63], v[162:163], v[166:167], v[60:61]
	s_delay_alu instid0(VALU_DEP_1) | instskip(NEXT) | instid1(VALU_DEP_2)
	v_cndmask_b32_e64 v61, v61, v63, s0
	v_cndmask_b32_e64 v60, v60, v62, s0
	s_wait_loadcnt 0x0
	s_delay_alu instid0(VALU_DEP_1) | instskip(NEXT) | instid1(VALU_DEP_1)
	v_fma_f64 v[62:63], v[168:169], v[164:165], v[60:61]
	v_cndmask_b32_e64 v61, v61, v63, s1
	s_delay_alu instid0(VALU_DEP_2)
	v_cndmask_b32_e64 v60, v60, v62, s1
	s_and_not1_b32 exec_lo, exec_lo, s38
	s_cbranch_execz .LBB15_2
.LBB15_7:                               ;   Parent Loop BB15_4 Depth=1
                                        ; =>  This Inner Loop Header: Depth=2
	global_load_b64 v[62:63], v[2:3], off
	v_ashrrev_i32_e32 v59, 31, v58
	v_mov_b32_e32 v64, 0
	v_mov_b32_e32 v65, 0
	s_delay_alu instid0(VALU_DEP_3) | instskip(NEXT) | instid1(VALU_DEP_1)
	v_lshlrev_b64_e32 v[66:67], 3, v[58:59]
	v_add_co_u32 v59, s2, v176, v66
	s_wait_alu 0xf1ff
	s_delay_alu instid0(VALU_DEP_2)
	v_add_co_ci_u32_e64 v179, null, v177, v67, s2
	s_and_saveexec_b32 s41, vcc_hi
	s_cbranch_execz .LBB15_9
; %bb.8:                                ;   in Loop: Header=BB15_7 Depth=2
	v_add_co_u32 v64, s2, v59, v4
	s_wait_alu 0xf1ff
	v_add_co_ci_u32_e64 v65, null, v179, v5, s2
	global_load_b64 v[64:65], v[64:65], off
.LBB15_9:                               ;   in Loop: Header=BB15_7 Depth=2
	s_or_b32 exec_lo, exec_lo, s41
	global_load_b64 v[66:67], v[2:3], off offset:8
	v_mov_b32_e32 v68, 0
	v_dual_mov_b32 v69, 0 :: v_dual_mov_b32 v70, 0
	v_mov_b32_e32 v71, 0
	s_and_saveexec_b32 s41, s56
	s_cbranch_execz .LBB15_11
; %bb.10:                               ;   in Loop: Header=BB15_7 Depth=2
	v_add_co_u32 v70, s2, v59, v6
	s_wait_alu 0xf1ff
	v_add_co_ci_u32_e64 v71, null, v179, v7, s2
	global_load_b64 v[70:71], v[70:71], off
.LBB15_11:                              ;   in Loop: Header=BB15_7 Depth=2
	s_or_b32 exec_lo, exec_lo, s41
	global_load_b64 v[72:73], v[2:3], off offset:16
	s_and_saveexec_b32 s41, s39
	s_cbranch_execz .LBB15_13
; %bb.12:                               ;   in Loop: Header=BB15_7 Depth=2
	v_add_co_u32 v68, s2, v59, v8
	s_wait_alu 0xf1ff
	v_add_co_ci_u32_e64 v69, null, v179, v9, s2
	global_load_b64 v[68:69], v[68:69], off
.LBB15_13:                              ;   in Loop: Header=BB15_7 Depth=2
	s_or_b32 exec_lo, exec_lo, s41
	global_load_b64 v[74:75], v[2:3], off offset:24
	v_mov_b32_e32 v76, 0
	v_dual_mov_b32 v77, 0 :: v_dual_mov_b32 v78, 0
	v_mov_b32_e32 v79, 0
	s_and_saveexec_b32 s41, s83
	s_cbranch_execz .LBB15_15
; %bb.14:                               ;   in Loop: Header=BB15_7 Depth=2
	v_add_co_u32 v78, s2, v59, v10
	s_wait_alu 0xf1ff
	v_add_co_ci_u32_e64 v79, null, v179, v11, s2
	global_load_b64 v[78:79], v[78:79], off
.LBB15_15:                              ;   in Loop: Header=BB15_7 Depth=2
	s_or_b32 exec_lo, exec_lo, s41
	global_load_b64 v[80:81], v[2:3], off offset:32
	s_and_saveexec_b32 s41, s84
	s_cbranch_execz .LBB15_17
; %bb.16:                               ;   in Loop: Header=BB15_7 Depth=2
	v_add_co_u32 v76, s2, v59, v12
	s_wait_alu 0xf1ff
	v_add_co_ci_u32_e64 v77, null, v179, v13, s2
	global_load_b64 v[76:77], v[76:77], off
.LBB15_17:                              ;   in Loop: Header=BB15_7 Depth=2
	;; [unrolled: 23-line block ×11, first 2 shown]
	s_or_b32 exec_lo, exec_lo, s41
	global_load_b64 v[154:155], v[2:3], off offset:184
	v_mov_b32_e32 v156, 0
	v_dual_mov_b32 v157, 0 :: v_dual_mov_b32 v158, 0
	v_mov_b32_e32 v159, 0
	s_and_saveexec_b32 s41, s34
	s_cbranch_execz .LBB15_55
; %bb.54:                               ;   in Loop: Header=BB15_7 Depth=2
	v_add_co_u32 v158, s2, v59, v50
	s_wait_alu 0xf1ff
	v_add_co_ci_u32_e64 v159, null, v179, v51, s2
	global_load_b64 v[158:159], v[158:159], off
.LBB15_55:                              ;   in Loop: Header=BB15_7 Depth=2
	s_or_b32 exec_lo, exec_lo, s41
	global_load_b64 v[160:161], v[2:3], off offset:192
	s_wait_alu 0xfffe
	s_and_saveexec_b32 s41, s27
	s_cbranch_execz .LBB15_57
; %bb.56:                               ;   in Loop: Header=BB15_7 Depth=2
	v_add_co_u32 v156, s2, v59, v52
	s_wait_alu 0xf1ff
	v_add_co_ci_u32_e64 v157, null, v179, v53, s2
	global_load_b64 v[156:157], v[156:157], off
.LBB15_57:                              ;   in Loop: Header=BB15_7 Depth=2
	s_or_b32 exec_lo, exec_lo, s41
	global_load_b64 v[162:163], v[2:3], off offset:200
	v_mov_b32_e32 v164, 0
	v_dual_mov_b32 v165, 0 :: v_dual_mov_b32 v166, 0
	v_mov_b32_e32 v167, 0
	s_and_saveexec_b32 s41, s40
	s_cbranch_execz .LBB15_59
; %bb.58:                               ;   in Loop: Header=BB15_7 Depth=2
	v_add_co_u32 v166, s2, v59, v54
	s_wait_alu 0xf1ff
	v_add_co_ci_u32_e64 v167, null, v179, v55, s2
	global_load_b64 v[166:167], v[166:167], off
.LBB15_59:                              ;   in Loop: Header=BB15_7 Depth=2
	s_or_b32 exec_lo, exec_lo, s41
	global_load_b64 v[168:169], v[2:3], off offset:208
	s_and_saveexec_b32 s41, s28
	s_cbranch_execz .LBB15_6
; %bb.60:                               ;   in Loop: Header=BB15_7 Depth=2
	v_add_co_u32 v164, s2, v59, v56
	s_wait_alu 0xf1ff
	v_add_co_ci_u32_e64 v165, null, v179, v57, s2
	global_load_b64 v[164:165], v[164:165], off
	s_branch .LBB15_6
.LBB15_61:                              ;   in Loop: Header=BB15_4 Depth=1
	v_mov_b32_e32 v60, 0
	v_mov_b32_e32 v61, 0
	s_branch .LBB15_3
.LBB15_62:
	s_nop 0
	s_sendmsg sendmsg(MSG_DEALLOC_VGPRS)
	s_endpgm
	.section	.rodata,"a",@progbits
	.p2align	6, 0x0
	.amdhsa_kernel _ZN2at6native12_GLOBAL__N_143conv_depthwise3d_cuda_backward_input_kernelIddLi3ELi3ELi3ELin1ELin1ELin1ELin1ELin1ELin1EEEvN5torch10headeronly6detail27GenericPackedTensorAccessorINS5_14TensorAccessorIN3c108ArrayRefIlEEKT_Lm4ENS4_16DefaultPtrTraitsEiEENS_6detail16IndexBoundsCheckILm5EiEESC_Lm5ESD_iEENS6_INS7_ISA_SB_Lm4ESD_iEESH_SB_Lm5ESD_iEESI_iiiiiiiii
		.amdhsa_group_segment_fixed_size 0
		.amdhsa_private_segment_fixed_size 0
		.amdhsa_kernarg_size 440
		.amdhsa_user_sgpr_count 2
		.amdhsa_user_sgpr_dispatch_ptr 0
		.amdhsa_user_sgpr_queue_ptr 0
		.amdhsa_user_sgpr_kernarg_segment_ptr 1
		.amdhsa_user_sgpr_dispatch_id 0
		.amdhsa_user_sgpr_private_segment_size 0
		.amdhsa_wavefront_size32 1
		.amdhsa_uses_dynamic_stack 0
		.amdhsa_enable_private_segment 0
		.amdhsa_system_sgpr_workgroup_id_x 1
		.amdhsa_system_sgpr_workgroup_id_y 0
		.amdhsa_system_sgpr_workgroup_id_z 0
		.amdhsa_system_sgpr_workgroup_info 0
		.amdhsa_system_vgpr_workitem_id 0
		.amdhsa_next_free_vgpr 181
		.amdhsa_next_free_sgpr 105
		.amdhsa_reserve_vcc 1
		.amdhsa_float_round_mode_32 0
		.amdhsa_float_round_mode_16_64 0
		.amdhsa_float_denorm_mode_32 3
		.amdhsa_float_denorm_mode_16_64 3
		.amdhsa_fp16_overflow 0
		.amdhsa_workgroup_processor_mode 1
		.amdhsa_memory_ordered 1
		.amdhsa_forward_progress 1
		.amdhsa_inst_pref_size 59
		.amdhsa_round_robin_scheduling 0
		.amdhsa_exception_fp_ieee_invalid_op 0
		.amdhsa_exception_fp_denorm_src 0
		.amdhsa_exception_fp_ieee_div_zero 0
		.amdhsa_exception_fp_ieee_overflow 0
		.amdhsa_exception_fp_ieee_underflow 0
		.amdhsa_exception_fp_ieee_inexact 0
		.amdhsa_exception_int_div_zero 0
	.end_amdhsa_kernel
	.section	.text._ZN2at6native12_GLOBAL__N_143conv_depthwise3d_cuda_backward_input_kernelIddLi3ELi3ELi3ELin1ELin1ELin1ELin1ELin1ELin1EEEvN5torch10headeronly6detail27GenericPackedTensorAccessorINS5_14TensorAccessorIN3c108ArrayRefIlEEKT_Lm4ENS4_16DefaultPtrTraitsEiEENS_6detail16IndexBoundsCheckILm5EiEESC_Lm5ESD_iEENS6_INS7_ISA_SB_Lm4ESD_iEESH_SB_Lm5ESD_iEESI_iiiiiiiii,"axG",@progbits,_ZN2at6native12_GLOBAL__N_143conv_depthwise3d_cuda_backward_input_kernelIddLi3ELi3ELi3ELin1ELin1ELin1ELin1ELin1ELin1EEEvN5torch10headeronly6detail27GenericPackedTensorAccessorINS5_14TensorAccessorIN3c108ArrayRefIlEEKT_Lm4ENS4_16DefaultPtrTraitsEiEENS_6detail16IndexBoundsCheckILm5EiEESC_Lm5ESD_iEENS6_INS7_ISA_SB_Lm4ESD_iEESH_SB_Lm5ESD_iEESI_iiiiiiiii,comdat
.Lfunc_end15:
	.size	_ZN2at6native12_GLOBAL__N_143conv_depthwise3d_cuda_backward_input_kernelIddLi3ELi3ELi3ELin1ELin1ELin1ELin1ELin1ELin1EEEvN5torch10headeronly6detail27GenericPackedTensorAccessorINS5_14TensorAccessorIN3c108ArrayRefIlEEKT_Lm4ENS4_16DefaultPtrTraitsEiEENS_6detail16IndexBoundsCheckILm5EiEESC_Lm5ESD_iEENS6_INS7_ISA_SB_Lm4ESD_iEESH_SB_Lm5ESD_iEESI_iiiiiiiii, .Lfunc_end15-_ZN2at6native12_GLOBAL__N_143conv_depthwise3d_cuda_backward_input_kernelIddLi3ELi3ELi3ELin1ELin1ELin1ELin1ELin1ELin1EEEvN5torch10headeronly6detail27GenericPackedTensorAccessorINS5_14TensorAccessorIN3c108ArrayRefIlEEKT_Lm4ENS4_16DefaultPtrTraitsEiEENS_6detail16IndexBoundsCheckILm5EiEESC_Lm5ESD_iEENS6_INS7_ISA_SB_Lm4ESD_iEESH_SB_Lm5ESD_iEESI_iiiiiiiii
                                        ; -- End function
	.set _ZN2at6native12_GLOBAL__N_143conv_depthwise3d_cuda_backward_input_kernelIddLi3ELi3ELi3ELin1ELin1ELin1ELin1ELin1ELin1EEEvN5torch10headeronly6detail27GenericPackedTensorAccessorINS5_14TensorAccessorIN3c108ArrayRefIlEEKT_Lm4ENS4_16DefaultPtrTraitsEiEENS_6detail16IndexBoundsCheckILm5EiEESC_Lm5ESD_iEENS6_INS7_ISA_SB_Lm4ESD_iEESH_SB_Lm5ESD_iEESI_iiiiiiiii.num_vgpr, 181
	.set _ZN2at6native12_GLOBAL__N_143conv_depthwise3d_cuda_backward_input_kernelIddLi3ELi3ELi3ELin1ELin1ELin1ELin1ELin1ELin1EEEvN5torch10headeronly6detail27GenericPackedTensorAccessorINS5_14TensorAccessorIN3c108ArrayRefIlEEKT_Lm4ENS4_16DefaultPtrTraitsEiEENS_6detail16IndexBoundsCheckILm5EiEESC_Lm5ESD_iEENS6_INS7_ISA_SB_Lm4ESD_iEESH_SB_Lm5ESD_iEESI_iiiiiiiii.num_agpr, 0
	.set _ZN2at6native12_GLOBAL__N_143conv_depthwise3d_cuda_backward_input_kernelIddLi3ELi3ELi3ELin1ELin1ELin1ELin1ELin1ELin1EEEvN5torch10headeronly6detail27GenericPackedTensorAccessorINS5_14TensorAccessorIN3c108ArrayRefIlEEKT_Lm4ENS4_16DefaultPtrTraitsEiEENS_6detail16IndexBoundsCheckILm5EiEESC_Lm5ESD_iEENS6_INS7_ISA_SB_Lm4ESD_iEESH_SB_Lm5ESD_iEESI_iiiiiiiii.numbered_sgpr, 105
	.set _ZN2at6native12_GLOBAL__N_143conv_depthwise3d_cuda_backward_input_kernelIddLi3ELi3ELi3ELin1ELin1ELin1ELin1ELin1ELin1EEEvN5torch10headeronly6detail27GenericPackedTensorAccessorINS5_14TensorAccessorIN3c108ArrayRefIlEEKT_Lm4ENS4_16DefaultPtrTraitsEiEENS_6detail16IndexBoundsCheckILm5EiEESC_Lm5ESD_iEENS6_INS7_ISA_SB_Lm4ESD_iEESH_SB_Lm5ESD_iEESI_iiiiiiiii.num_named_barrier, 0
	.set _ZN2at6native12_GLOBAL__N_143conv_depthwise3d_cuda_backward_input_kernelIddLi3ELi3ELi3ELin1ELin1ELin1ELin1ELin1ELin1EEEvN5torch10headeronly6detail27GenericPackedTensorAccessorINS5_14TensorAccessorIN3c108ArrayRefIlEEKT_Lm4ENS4_16DefaultPtrTraitsEiEENS_6detail16IndexBoundsCheckILm5EiEESC_Lm5ESD_iEENS6_INS7_ISA_SB_Lm4ESD_iEESH_SB_Lm5ESD_iEESI_iiiiiiiii.private_seg_size, 0
	.set _ZN2at6native12_GLOBAL__N_143conv_depthwise3d_cuda_backward_input_kernelIddLi3ELi3ELi3ELin1ELin1ELin1ELin1ELin1ELin1EEEvN5torch10headeronly6detail27GenericPackedTensorAccessorINS5_14TensorAccessorIN3c108ArrayRefIlEEKT_Lm4ENS4_16DefaultPtrTraitsEiEENS_6detail16IndexBoundsCheckILm5EiEESC_Lm5ESD_iEENS6_INS7_ISA_SB_Lm4ESD_iEESH_SB_Lm5ESD_iEESI_iiiiiiiii.uses_vcc, 1
	.set _ZN2at6native12_GLOBAL__N_143conv_depthwise3d_cuda_backward_input_kernelIddLi3ELi3ELi3ELin1ELin1ELin1ELin1ELin1ELin1EEEvN5torch10headeronly6detail27GenericPackedTensorAccessorINS5_14TensorAccessorIN3c108ArrayRefIlEEKT_Lm4ENS4_16DefaultPtrTraitsEiEENS_6detail16IndexBoundsCheckILm5EiEESC_Lm5ESD_iEENS6_INS7_ISA_SB_Lm4ESD_iEESH_SB_Lm5ESD_iEESI_iiiiiiiii.uses_flat_scratch, 0
	.set _ZN2at6native12_GLOBAL__N_143conv_depthwise3d_cuda_backward_input_kernelIddLi3ELi3ELi3ELin1ELin1ELin1ELin1ELin1ELin1EEEvN5torch10headeronly6detail27GenericPackedTensorAccessorINS5_14TensorAccessorIN3c108ArrayRefIlEEKT_Lm4ENS4_16DefaultPtrTraitsEiEENS_6detail16IndexBoundsCheckILm5EiEESC_Lm5ESD_iEENS6_INS7_ISA_SB_Lm4ESD_iEESH_SB_Lm5ESD_iEESI_iiiiiiiii.has_dyn_sized_stack, 0
	.set _ZN2at6native12_GLOBAL__N_143conv_depthwise3d_cuda_backward_input_kernelIddLi3ELi3ELi3ELin1ELin1ELin1ELin1ELin1ELin1EEEvN5torch10headeronly6detail27GenericPackedTensorAccessorINS5_14TensorAccessorIN3c108ArrayRefIlEEKT_Lm4ENS4_16DefaultPtrTraitsEiEENS_6detail16IndexBoundsCheckILm5EiEESC_Lm5ESD_iEENS6_INS7_ISA_SB_Lm4ESD_iEESH_SB_Lm5ESD_iEESI_iiiiiiiii.has_recursion, 0
	.set _ZN2at6native12_GLOBAL__N_143conv_depthwise3d_cuda_backward_input_kernelIddLi3ELi3ELi3ELin1ELin1ELin1ELin1ELin1ELin1EEEvN5torch10headeronly6detail27GenericPackedTensorAccessorINS5_14TensorAccessorIN3c108ArrayRefIlEEKT_Lm4ENS4_16DefaultPtrTraitsEiEENS_6detail16IndexBoundsCheckILm5EiEESC_Lm5ESD_iEENS6_INS7_ISA_SB_Lm4ESD_iEESH_SB_Lm5ESD_iEESI_iiiiiiiii.has_indirect_call, 0
	.section	.AMDGPU.csdata,"",@progbits
; Kernel info:
; codeLenInByte = 7436
; TotalNumSgprs: 107
; NumVgprs: 181
; ScratchSize: 0
; MemoryBound: 0
; FloatMode: 240
; IeeeMode: 1
; LDSByteSize: 0 bytes/workgroup (compile time only)
; SGPRBlocks: 0
; VGPRBlocks: 22
; NumSGPRsForWavesPerEU: 107
; NumVGPRsForWavesPerEU: 181
; Occupancy: 8
; WaveLimiterHint : 0
; COMPUTE_PGM_RSRC2:SCRATCH_EN: 0
; COMPUTE_PGM_RSRC2:USER_SGPR: 2
; COMPUTE_PGM_RSRC2:TRAP_HANDLER: 0
; COMPUTE_PGM_RSRC2:TGID_X_EN: 1
; COMPUTE_PGM_RSRC2:TGID_Y_EN: 0
; COMPUTE_PGM_RSRC2:TGID_Z_EN: 0
; COMPUTE_PGM_RSRC2:TIDIG_COMP_CNT: 0
	.section	.text._ZN2at6native12_GLOBAL__N_143conv_depthwise3d_cuda_backward_input_kernelIddLin1ELin1ELin1ELin1ELin1ELin1ELin1ELin1ELin1EEEvN5torch10headeronly6detail27GenericPackedTensorAccessorINS5_14TensorAccessorIN3c108ArrayRefIlEEKT_Lm4ENS4_16DefaultPtrTraitsEiEENS_6detail16IndexBoundsCheckILm5EiEESC_Lm5ESD_iEENS6_INS7_ISA_SB_Lm4ESD_iEESH_SB_Lm5ESD_iEESI_iiiiiiiii,"axG",@progbits,_ZN2at6native12_GLOBAL__N_143conv_depthwise3d_cuda_backward_input_kernelIddLin1ELin1ELin1ELin1ELin1ELin1ELin1ELin1ELin1EEEvN5torch10headeronly6detail27GenericPackedTensorAccessorINS5_14TensorAccessorIN3c108ArrayRefIlEEKT_Lm4ENS4_16DefaultPtrTraitsEiEENS_6detail16IndexBoundsCheckILm5EiEESC_Lm5ESD_iEENS6_INS7_ISA_SB_Lm4ESD_iEESH_SB_Lm5ESD_iEESI_iiiiiiiii,comdat
	.globl	_ZN2at6native12_GLOBAL__N_143conv_depthwise3d_cuda_backward_input_kernelIddLin1ELin1ELin1ELin1ELin1ELin1ELin1ELin1ELin1EEEvN5torch10headeronly6detail27GenericPackedTensorAccessorINS5_14TensorAccessorIN3c108ArrayRefIlEEKT_Lm4ENS4_16DefaultPtrTraitsEiEENS_6detail16IndexBoundsCheckILm5EiEESC_Lm5ESD_iEENS6_INS7_ISA_SB_Lm4ESD_iEESH_SB_Lm5ESD_iEESI_iiiiiiiii ; -- Begin function _ZN2at6native12_GLOBAL__N_143conv_depthwise3d_cuda_backward_input_kernelIddLin1ELin1ELin1ELin1ELin1ELin1ELin1ELin1ELin1EEEvN5torch10headeronly6detail27GenericPackedTensorAccessorINS5_14TensorAccessorIN3c108ArrayRefIlEEKT_Lm4ENS4_16DefaultPtrTraitsEiEENS_6detail16IndexBoundsCheckILm5EiEESC_Lm5ESD_iEENS6_INS7_ISA_SB_Lm4ESD_iEESH_SB_Lm5ESD_iEESI_iiiiiiiii
	.p2align	8
	.type	_ZN2at6native12_GLOBAL__N_143conv_depthwise3d_cuda_backward_input_kernelIddLin1ELin1ELin1ELin1ELin1ELin1ELin1ELin1ELin1EEEvN5torch10headeronly6detail27GenericPackedTensorAccessorINS5_14TensorAccessorIN3c108ArrayRefIlEEKT_Lm4ENS4_16DefaultPtrTraitsEiEENS_6detail16IndexBoundsCheckILm5EiEESC_Lm5ESD_iEENS6_INS7_ISA_SB_Lm4ESD_iEESH_SB_Lm5ESD_iEESI_iiiiiiiii,@function
_ZN2at6native12_GLOBAL__N_143conv_depthwise3d_cuda_backward_input_kernelIddLin1ELin1ELin1ELin1ELin1ELin1ELin1ELin1ELin1EEEvN5torch10headeronly6detail27GenericPackedTensorAccessorINS5_14TensorAccessorIN3c108ArrayRefIlEEKT_Lm4ENS4_16DefaultPtrTraitsEiEENS_6detail16IndexBoundsCheckILm5EiEESC_Lm5ESD_iEENS6_INS7_ISA_SB_Lm4ESD_iEESH_SB_Lm5ESD_iEESI_iiiiiiiii: ; @_ZN2at6native12_GLOBAL__N_143conv_depthwise3d_cuda_backward_input_kernelIddLin1ELin1ELin1ELin1ELin1ELin1ELin1ELin1ELin1EEEvN5torch10headeronly6detail27GenericPackedTensorAccessorINS5_14TensorAccessorIN3c108ArrayRefIlEEKT_Lm4ENS4_16DefaultPtrTraitsEiEENS_6detail16IndexBoundsCheckILm5EiEESC_Lm5ESD_iEENS6_INS7_ISA_SB_Lm4ESD_iEESH_SB_Lm5ESD_iEESI_iiiiiiiii
; %bb.0:
	s_clause 0x2
	s_load_b128 s[16:19], s[0:1], 0x38
	s_load_b32 s2, s[0:1], 0xc4
	s_load_b64 s[6:7], s[0:1], 0x48
	v_mov_b32_e32 v1, 0
	s_mov_b32 s4, exec_lo
	s_wait_kmcnt 0x0
	s_abs_i32 s33, s17
	s_and_b32 s2, s2, 0xffff
	s_cvt_f32_u32 s3, s33
	v_mad_co_u64_u32 v[0:1], null, s2, ttmp9, v[0:1]
	s_mul_i32 s34, s7, s16
	s_delay_alu instid0(SALU_CYCLE_1) | instskip(SKIP_1) | instid1(TRANS32_DEP_1)
	v_rcp_iflag_f32_e32 v2, s3
	s_ashr_i32 s35, s34, 31
	v_readfirstlane_b32 s3, v2
	v_cmpx_gt_i64_e64 s[34:35], v[0:1]
	s_cbranch_execz .LBB16_19
; %bb.1:
	s_clause 0x1
	s_load_b128 s[20:23], s[0:1], 0xc
	s_load_b64 s[38:39], s[0:1], 0x0
	s_mul_f32 s3, s3, 0x4f7ffffe
	s_sub_co_i32 s63, 0, s33
	s_mov_b32 s37, 0
	s_load_b128 s[24:27], s[0:1], 0x70
	s_cvt_u32_f32 s3, s3
	s_mov_b32 s5, s37
	s_ashr_i32 s16, s17, 31
	s_add_nc_u64 s[8:9], s[0:1], 0xb8
	s_wait_alu 0xfffe
	s_mul_i32 s4, s63, s3
	s_load_b32 s49, s[8:9], 0x0
	s_mul_hi_u32 s4, s3, s4
	s_clause 0x1
	s_load_b64 s[40:41], s[0:1], 0x1c
	s_load_b64 s[42:43], s[0:1], 0x30
	s_add_co_i32 s4, s3, s4
	s_clause 0x1
	s_load_b64 s[44:45], s[0:1], 0x60
	s_load_b128 s[28:31], s[0:1], 0x50
	s_wait_kmcnt 0x0
	s_abs_i32 s36, s20
	s_ashr_i32 s3, s20, 31
	s_mul_u64 s[4:5], s[36:37], s[4:5]
	s_wait_alu 0xfffe
	s_xor_b32 s3, s3, s16
	s_mul_i32 s4, s5, s33
	s_add_co_i32 s10, s5, 1
	s_sub_co_i32 s4, s36, s4
	s_delay_alu instid0(SALU_CYCLE_1)
	s_sub_co_i32 s11, s4, s33
	s_cmp_ge_u32 s4, s33
	s_mul_i32 s49, s49, s2
	s_cselect_b32 s5, s10, s5
	s_cselect_b32 s4, s11, s4
	s_add_co_i32 s20, s5, 1
	s_cmp_ge_u32 s4, s33
	s_load_b256 s[8:15], s[0:1], 0x90
	s_cselect_b32 s4, s20, s5
	s_load_b32 s20, s[0:1], 0xb0
	s_xor_b32 s4, s4, s3
	s_delay_alu instid0(SALU_CYCLE_1)
	s_sub_co_i32 s36, s4, s3
	s_cmp_gt_i32 s24, 0
	v_readfirstlane_b32 s3, v2
	s_cselect_b32 s46, -1, 0
	s_cmp_gt_i32 s25, 0
	s_cselect_b32 s47, -1, 0
	s_cmp_gt_i32 s26, 0
	s_mul_f32 s0, s3, 0x4f7ffffe
	s_cselect_b32 s48, -1, 0
	s_cmp_gt_i32 s36, 0
	s_cselect_b32 s50, -1, 0
	s_abs_i32 s52, s6
	s_abs_i32 s55, s18
	s_cvt_f32_u32 s1, s52
	s_cvt_f32_u32 s3, s55
	s_abs_i32 s54, s19
	s_wait_kmcnt 0x0
	s_abs_i32 s57, s8
	s_wait_alu 0xfffe
	v_rcp_iflag_f32_e32 v2, s1
	s_cvt_f32_u32 s2, s54
	v_rcp_iflag_f32_e32 v4, s3
	s_cvt_f32_u32 s1, s57
	s_abs_i32 s58, s9
	s_wait_alu 0xfffe
	v_rcp_iflag_f32_e32 v3, s2
	s_sub_co_i32 s2, 0, s52
	v_rcp_iflag_f32_e32 v5, s1
	s_cvt_f32_u32 s61, s58
	s_abs_i32 s59, s10
	v_readfirstlane_b32 s1, v2
	s_sub_co_i32 s60, 0, s55
	v_readfirstlane_b32 s5, v4
	v_rcp_iflag_f32_e32 v2, s61
	s_sub_co_i32 s3, 0, s54
	s_mul_f32 s1, s1, 0x4f7ffffe
	v_readfirstlane_b32 s4, v3
	s_mul_f32 s5, s5, 0x4f7ffffe
	v_readfirstlane_b32 s62, v5
	s_wait_alu 0xfffe
	s_cvt_u32_f32 s1, s1
	s_cvt_u32_f32 s0, s0
	s_mul_f32 s4, s4, 0x4f7ffffe
	s_cvt_u32_f32 s5, s5
	s_wait_alu 0xfffe
	s_mul_i32 s2, s2, s1
	s_mul_i32 s63, s63, s0
	s_wait_alu 0xfffe
	s_mul_hi_u32 s2, s1, s2
	s_cvt_u32_f32 s4, s4
	s_mul_i32 s64, s60, s5
	s_wait_alu 0xfffe
	s_add_co_i32 s60, s1, s2
	s_cvt_f32_u32 s1, s59
	s_mul_i32 s3, s3, s4
	s_mul_hi_u32 s2, s5, s64
	s_wait_alu 0xfffe
	s_mul_hi_u32 s3, s4, s3
	v_rcp_iflag_f32_e32 v3, s1
	s_wait_alu 0xfffe
	s_add_co_i32 s61, s4, s3
	s_mul_f32 s3, s62, 0x4f7ffffe
	s_add_co_i32 s62, s5, s2
	v_readfirstlane_b32 s2, v2
	s_sub_co_i32 s4, 0, s57
	s_wait_alu 0xfffe
	s_cvt_u32_f32 s1, s3
	s_mul_hi_u32 s3, s0, s63
	s_ashr_i32 s51, s6, 31
	s_wait_alu 0xfffe
	s_add_co_i32 s63, s0, s3
	s_mul_f32 s0, s2, 0x4f7ffffe
	v_readfirstlane_b32 s2, v3
	s_mul_i32 s4, s4, s1
	s_ashr_i32 s53, s19, 31
	s_mul_hi_u32 s3, s1, s4
	s_wait_alu 0xfffe
	s_cvt_u32_f32 s0, s0
	s_add_co_i32 s65, s1, s3
	s_mul_f32 s1, s2, 0x4f7ffffe
	s_sub_co_i32 s2, 0, s58
	s_sub_co_i32 s3, 0, s59
	s_wait_alu 0xfffe
	s_mul_i32 s2, s2, s0
	s_cvt_u32_f32 s1, s1
	s_wait_alu 0xfffe
	s_mul_hi_u32 s2, s0, s2
	s_ashr_i32 s56, s18, 31
	s_wait_alu 0xfffe
	s_add_co_i32 s67, s0, s2
	s_mul_i32 s3, s3, s1
	s_ashr_i32 s64, s8, 31
	s_wait_alu 0xfffe
	s_mul_hi_u32 s0, s1, s3
	s_ashr_i32 s66, s9, 31
	s_ashr_i32 s68, s10, 31
	s_wait_alu 0xfffe
	s_add_co_i32 s69, s1, s0
	s_branch .LBB16_4
.LBB16_2:                               ;   in Loop: Header=BB16_4 Depth=1
	s_or_b32 exec_lo, exec_lo, s70
.LBB16_3:                               ;   in Loop: Header=BB16_4 Depth=1
	v_mul_lo_u32 v4, v13, s7
	v_mul_lo_u32 v6, s28, v14
	;; [unrolled: 1-line block ×4, first 2 shown]
	v_add_co_u32 v0, vcc_lo, v0, s49
	v_mul_lo_u32 v13, s31, v10
	s_wait_alu 0xfffd
	v_add_co_ci_u32_e64 v1, null, 0, v1, vcc_lo
	v_ashrrev_i32_e32 v5, 31, v4
	v_ashrrev_i32_e32 v7, 31, v6
	v_ashrrev_i32_e32 v9, 31, v8
	v_ashrrev_i32_e32 v12, 31, v11
	s_delay_alu instid0(VALU_DEP_4) | instskip(NEXT) | instid1(VALU_DEP_4)
	v_lshlrev_b64_e32 v[4:5], 3, v[4:5]
	v_lshlrev_b64_e32 v[6:7], 3, v[6:7]
	v_ashrrev_i32_e32 v14, 31, v13
	s_delay_alu instid0(VALU_DEP_3) | instskip(SKIP_1) | instid1(VALU_DEP_4)
	v_add_co_u32 v10, vcc_lo, s42, v4
	s_wait_alu 0xfffd
	v_add_co_ci_u32_e64 v15, null, s43, v5, vcc_lo
	v_lshlrev_b64_e32 v[4:5], 3, v[8:9]
	s_delay_alu instid0(VALU_DEP_3) | instskip(SKIP_1) | instid1(VALU_DEP_3)
	v_add_co_u32 v8, vcc_lo, v10, v6
	s_wait_alu 0xfffd
	v_add_co_ci_u32_e64 v9, null, v15, v7, vcc_lo
	v_lshlrev_b64_e32 v[6:7], 3, v[11:12]
	s_delay_alu instid0(VALU_DEP_3) | instskip(SKIP_1) | instid1(VALU_DEP_3)
	;; [unrolled: 5-line block ×3, first 2 shown]
	v_add_co_u32 v6, vcc_lo, v8, v6
	s_wait_alu 0xfffd
	v_add_co_ci_u32_e64 v7, null, v9, v7, vcc_lo
	v_cmp_le_i64_e32 vcc_lo, s[34:35], v[0:1]
	s_delay_alu instid0(VALU_DEP_3) | instskip(SKIP_1) | instid1(VALU_DEP_3)
	v_add_co_u32 v4, s0, v6, v4
	s_wait_alu 0xf1ff
	v_add_co_ci_u32_e64 v5, null, v7, v5, s0
	s_or_b32 s37, vcc_lo, s37
	global_store_b64 v[4:5], v[2:3], off
	s_wait_alu 0xfffe
	s_and_not1_b32 exec_lo, exec_lo, s37
	s_cbranch_execz .LBB16_19
.LBB16_4:                               ; =>This Loop Header: Depth=1
                                        ;     Child Loop BB16_7 Depth 2
                                        ;       Child Loop BB16_10 Depth 3
                                        ;         Child Loop BB16_13 Depth 4
                                        ;           Child Loop BB16_16 Depth 5
	v_sub_nc_u32_e32 v2, 0, v0
	s_delay_alu instid0(VALU_DEP_1) | instskip(NEXT) | instid1(VALU_DEP_1)
	v_max_i32_e32 v2, v0, v2
	v_mul_hi_u32 v3, v2, s60
	s_delay_alu instid0(VALU_DEP_1) | instskip(NEXT) | instid1(VALU_DEP_1)
	v_mul_lo_u32 v4, v3, s52
	v_sub_nc_u32_e32 v2, v2, v4
	v_add_nc_u32_e32 v4, 1, v3
	s_delay_alu instid0(VALU_DEP_2) | instskip(SKIP_2) | instid1(VALU_DEP_2)
	v_subrev_nc_u32_e32 v5, s52, v2
	v_cmp_le_u32_e32 vcc_lo, s52, v2
	s_wait_alu 0xfffd
	v_dual_cndmask_b32 v3, v3, v4 :: v_dual_cndmask_b32 v2, v2, v5
	v_ashrrev_i32_e32 v4, 31, v0
	s_delay_alu instid0(VALU_DEP_2) | instskip(NEXT) | instid1(VALU_DEP_3)
	v_add_nc_u32_e32 v5, 1, v3
	v_cmp_le_u32_e32 vcc_lo, s52, v2
	s_delay_alu instid0(VALU_DEP_3) | instskip(SKIP_1) | instid1(VALU_DEP_3)
	v_xor_b32_e32 v4, s51, v4
	s_wait_alu 0xfffd
	v_cndmask_b32_e32 v2, v3, v5, vcc_lo
	s_delay_alu instid0(VALU_DEP_1) | instskip(NEXT) | instid1(VALU_DEP_1)
	v_xor_b32_e32 v2, v2, v4
	v_sub_nc_u32_e32 v2, v2, v4
	s_delay_alu instid0(VALU_DEP_1) | instskip(NEXT) | instid1(VALU_DEP_1)
	v_sub_nc_u32_e32 v3, 0, v2
	v_max_i32_e32 v3, v2, v3
	s_delay_alu instid0(VALU_DEP_1) | instskip(NEXT) | instid1(VALU_DEP_1)
	v_mul_hi_u32 v4, v3, s61
	v_mul_lo_u32 v5, v4, s54
	s_delay_alu instid0(VALU_DEP_1) | instskip(SKIP_1) | instid1(VALU_DEP_2)
	v_sub_nc_u32_e32 v3, v3, v5
	v_add_nc_u32_e32 v5, 1, v4
	v_subrev_nc_u32_e32 v6, s54, v3
	v_cmp_le_u32_e32 vcc_lo, s54, v3
	s_wait_alu 0xfffd
	s_delay_alu instid0(VALU_DEP_2) | instskip(SKIP_1) | instid1(VALU_DEP_2)
	v_dual_cndmask_b32 v4, v4, v5 :: v_dual_cndmask_b32 v3, v3, v6
	v_ashrrev_i32_e32 v5, 31, v2
	v_add_nc_u32_e32 v6, 1, v4
	s_delay_alu instid0(VALU_DEP_3) | instskip(NEXT) | instid1(VALU_DEP_3)
	v_cmp_le_u32_e32 vcc_lo, s54, v3
	v_xor_b32_e32 v5, s53, v5
	s_wait_alu 0xfffd
	s_delay_alu instid0(VALU_DEP_3) | instskip(NEXT) | instid1(VALU_DEP_1)
	v_cndmask_b32_e32 v3, v4, v6, vcc_lo
	v_xor_b32_e32 v3, v3, v5
	s_delay_alu instid0(VALU_DEP_1) | instskip(NEXT) | instid1(VALU_DEP_1)
	v_sub_nc_u32_e32 v3, v3, v5
	v_sub_nc_u32_e32 v4, 0, v3
	s_delay_alu instid0(VALU_DEP_1) | instskip(NEXT) | instid1(VALU_DEP_1)
	v_max_i32_e32 v4, v3, v4
	v_mul_hi_u32 v5, v4, s62
	s_delay_alu instid0(VALU_DEP_1) | instskip(NEXT) | instid1(VALU_DEP_1)
	v_mul_lo_u32 v6, v5, s55
	v_sub_nc_u32_e32 v4, v4, v6
	v_add_nc_u32_e32 v6, 1, v5
	s_delay_alu instid0(VALU_DEP_2) | instskip(SKIP_2) | instid1(VALU_DEP_2)
	v_subrev_nc_u32_e32 v7, s55, v4
	v_cmp_le_u32_e32 vcc_lo, s55, v4
	s_wait_alu 0xfffd
	v_dual_cndmask_b32 v5, v5, v6 :: v_dual_cndmask_b32 v4, v4, v7
	v_ashrrev_i32_e32 v6, 31, v3
	s_delay_alu instid0(VALU_DEP_2) | instskip(NEXT) | instid1(VALU_DEP_3)
	v_add_nc_u32_e32 v7, 1, v5
	v_cmp_le_u32_e32 vcc_lo, s55, v4
	s_delay_alu instid0(VALU_DEP_3) | instskip(SKIP_1) | instid1(VALU_DEP_3)
	v_xor_b32_e32 v6, s56, v6
	s_wait_alu 0xfffd
	v_cndmask_b32_e32 v4, v5, v7, vcc_lo
	s_delay_alu instid0(VALU_DEP_1) | instskip(NEXT) | instid1(VALU_DEP_1)
	v_xor_b32_e32 v4, v4, v6
	v_sub_nc_u32_e32 v4, v4, v6
	s_delay_alu instid0(VALU_DEP_1) | instskip(NEXT) | instid1(VALU_DEP_1)
	v_sub_nc_u32_e32 v5, 0, v4
	v_max_i32_e32 v5, v4, v5
	s_delay_alu instid0(VALU_DEP_1) | instskip(NEXT) | instid1(VALU_DEP_1)
	v_mul_hi_u32 v6, v5, s63
	v_mul_lo_u32 v7, v6, s33
	s_delay_alu instid0(VALU_DEP_1) | instskip(SKIP_1) | instid1(VALU_DEP_2)
	v_sub_nc_u32_e32 v5, v5, v7
	v_add_nc_u32_e32 v7, 1, v6
	v_subrev_nc_u32_e32 v8, s33, v5
	v_cmp_le_u32_e32 vcc_lo, s33, v5
	s_wait_alu 0xfffd
	s_delay_alu instid0(VALU_DEP_2) | instskip(SKIP_1) | instid1(VALU_DEP_2)
	v_dual_cndmask_b32 v6, v6, v7 :: v_dual_cndmask_b32 v5, v5, v8
	v_ashrrev_i32_e32 v7, 31, v4
	v_add_nc_u32_e32 v8, 1, v6
	s_delay_alu instid0(VALU_DEP_3) | instskip(NEXT) | instid1(VALU_DEP_3)
	v_cmp_le_u32_e32 vcc_lo, s33, v5
	v_xor_b32_e32 v7, s16, v7
	s_wait_alu 0xfffd
	s_delay_alu instid0(VALU_DEP_3) | instskip(SKIP_2) | instid1(VALU_DEP_2)
	v_cndmask_b32_e32 v5, v6, v8, vcc_lo
	v_mul_lo_u32 v6, v3, s19
	s_and_not1_b32 vcc_lo, exec_lo, s50
	v_xor_b32_e32 v5, v5, v7
	s_delay_alu instid0(VALU_DEP_2) | instskip(NEXT) | instid1(VALU_DEP_2)
	v_sub_nc_u32_e32 v11, v2, v6
	v_sub_nc_u32_e32 v13, v5, v7
	v_mul_lo_u32 v5, v2, s6
	v_mul_lo_u32 v7, v4, s18
	s_delay_alu instid0(VALU_DEP_3) | instskip(NEXT) | instid1(VALU_DEP_3)
	v_mul_lo_u32 v8, v13, s17
	v_sub_nc_u32_e32 v10, v0, v5
	s_delay_alu instid0(VALU_DEP_3) | instskip(NEXT) | instid1(VALU_DEP_3)
	v_sub_nc_u32_e32 v12, v3, v7
	v_sub_nc_u32_e32 v14, v4, v8
	s_wait_alu 0xfffe
	s_cbranch_vccnz .LBB16_18
; %bb.5:                                ;   in Loop: Header=BB16_4 Depth=1
	s_delay_alu instid0(VALU_DEP_1)
	v_mul_lo_u32 v15, v14, s36
	v_mul_lo_u32 v4, s40, v13
	v_add_nc_u32_e32 v17, s12, v11
	v_add_nc_u32_e32 v16, s13, v10
	;; [unrolled: 1-line block ×3, first 2 shown]
	s_mov_b32 s70, 0
	v_mul_lo_u32 v2, s27, v15
	v_ashrrev_i32_e32 v5, 31, v4
	v_add_nc_u32_e32 v19, s36, v15
	s_delay_alu instid0(VALU_DEP_2) | instskip(NEXT) | instid1(VALU_DEP_4)
	v_lshlrev_b64_e32 v[8:9], 3, v[4:5]
	v_ashrrev_i32_e32 v3, 31, v2
	s_delay_alu instid0(VALU_DEP_1) | instskip(SKIP_2) | instid1(VALU_DEP_3)
	v_lshlrev_b64_e32 v[6:7], 3, v[2:3]
	v_mov_b32_e32 v2, 0
	v_mov_b32_e32 v3, 0
	v_add_co_u32 v4, vcc_lo, s44, v6
	s_wait_alu 0xfffd
	s_delay_alu instid0(VALU_DEP_4)
	v_add_co_ci_u32_e64 v5, null, s45, v7, vcc_lo
	v_add_co_u32 v20, vcc_lo, s38, v8
	s_wait_alu 0xfffd
	v_add_co_ci_u32_e64 v21, null, s39, v9, vcc_lo
	s_branch .LBB16_7
.LBB16_6:                               ;   in Loop: Header=BB16_7 Depth=2
	v_add_nc_u32_e32 v15, 1, v15
	s_delay_alu instid0(VALU_DEP_1) | instskip(SKIP_1) | instid1(SALU_CYCLE_1)
	v_cmp_ge_i32_e32 vcc_lo, v15, v19
	s_or_b32 s70, vcc_lo, s70
	s_and_not1_b32 exec_lo, exec_lo, s70
	s_cbranch_execz .LBB16_2
.LBB16_7:                               ;   Parent Loop BB16_4 Depth=1
                                        ; =>  This Loop Header: Depth=2
                                        ;       Child Loop BB16_10 Depth 3
                                        ;         Child Loop BB16_13 Depth 4
                                        ;           Child Loop BB16_16 Depth 5
	s_and_not1_b32 vcc_lo, exec_lo, s46
	s_wait_alu 0xfffe
	s_cbranch_vccnz .LBB16_6
; %bb.8:                                ;   in Loop: Header=BB16_7 Depth=2
	v_mul_lo_u32 v6, s41, v15
	s_mov_b32 s71, 0
	s_delay_alu instid0(VALU_DEP_1) | instskip(NEXT) | instid1(VALU_DEP_1)
	v_ashrrev_i32_e32 v7, 31, v6
	v_lshlrev_b64_e32 v[6:7], 3, v[6:7]
	s_delay_alu instid0(VALU_DEP_1) | instskip(SKIP_1) | instid1(VALU_DEP_2)
	v_add_co_u32 v22, vcc_lo, v20, v6
	s_wait_alu 0xfffd
	v_add_co_ci_u32_e64 v23, null, v21, v7, vcc_lo
	s_branch .LBB16_10
.LBB16_9:                               ;   in Loop: Header=BB16_10 Depth=3
	s_add_co_i32 s71, s71, 1
	s_delay_alu instid0(SALU_CYCLE_1)
	s_cmp_eq_u32 s71, s24
	s_cbranch_scc1 .LBB16_6
.LBB16_10:                              ;   Parent Loop BB16_4 Depth=1
                                        ;     Parent Loop BB16_7 Depth=2
                                        ; =>    This Loop Header: Depth=3
                                        ;         Child Loop BB16_13 Depth 4
                                        ;           Child Loop BB16_16 Depth 5
	s_and_not1_b32 vcc_lo, exec_lo, s47
	s_wait_alu 0xfffe
	s_cbranch_vccnz .LBB16_9
; %bb.11:                               ;   in Loop: Header=BB16_10 Depth=3
	s_mul_i32 s0, s14, s71
	s_mov_b32 s72, 0
	s_wait_alu 0xfffe
	v_subrev_nc_u32_e32 v6, s0, v18
	s_delay_alu instid0(VALU_DEP_1) | instskip(NEXT) | instid1(VALU_DEP_1)
	v_sub_nc_u32_e32 v7, 0, v6
	v_max_i32_e32 v7, v6, v7
	s_delay_alu instid0(VALU_DEP_1) | instskip(NEXT) | instid1(VALU_DEP_1)
	v_mul_hi_u32 v8, v7, s65
	v_mul_lo_u32 v9, v8, s57
	s_delay_alu instid0(VALU_DEP_1) | instskip(SKIP_1) | instid1(VALU_DEP_2)
	v_sub_nc_u32_e32 v7, v7, v9
	v_add_nc_u32_e32 v9, 1, v8
	v_subrev_nc_u32_e32 v24, s57, v7
	v_cmp_le_u32_e32 vcc_lo, s57, v7
	s_wait_alu 0xfffd
	s_delay_alu instid0(VALU_DEP_2) | instskip(SKIP_1) | instid1(VALU_DEP_2)
	v_dual_cndmask_b32 v8, v8, v9 :: v_dual_cndmask_b32 v7, v7, v24
	v_ashrrev_i32_e32 v9, 31, v6
	v_add_nc_u32_e32 v24, 1, v8
	s_delay_alu instid0(VALU_DEP_3) | instskip(NEXT) | instid1(VALU_DEP_3)
	v_cmp_le_u32_e32 vcc_lo, s57, v7
	v_xor_b32_e32 v9, s64, v9
	s_wait_alu 0xfffd
	s_delay_alu instid0(VALU_DEP_3) | instskip(NEXT) | instid1(VALU_DEP_1)
	v_cndmask_b32_e32 v7, v8, v24, vcc_lo
	v_xor_b32_e32 v7, v7, v9
	s_delay_alu instid0(VALU_DEP_1) | instskip(NEXT) | instid1(VALU_DEP_1)
	v_sub_nc_u32_e32 v7, v7, v9
	v_mul_lo_u32 v8, v7, s8
	v_mul_lo_u32 v24, v7, s22
	v_cmp_lt_i32_e64 s0, -1, v7
	v_cmp_gt_i32_e64 s1, s21, v7
	s_delay_alu instid0(VALU_DEP_4)
	v_cmp_eq_u32_e64 s2, v8, v6
	s_branch .LBB16_13
.LBB16_12:                              ;   in Loop: Header=BB16_13 Depth=4
	s_add_co_i32 s72, s72, 1
	s_delay_alu instid0(SALU_CYCLE_1)
	s_cmp_eq_u32 s72, s25
	s_cbranch_scc1 .LBB16_9
.LBB16_13:                              ;   Parent Loop BB16_4 Depth=1
                                        ;     Parent Loop BB16_7 Depth=2
                                        ;       Parent Loop BB16_10 Depth=3
                                        ; =>      This Loop Header: Depth=4
                                        ;           Child Loop BB16_16 Depth 5
	s_and_not1_b32 vcc_lo, exec_lo, s48
	s_wait_alu 0xfffe
	s_cbranch_vccnz .LBB16_12
; %bb.14:                               ;   in Loop: Header=BB16_13 Depth=4
	s_mul_i32 s3, s15, s72
	s_mov_b32 s74, s26
	s_wait_alu 0xfffe
	v_subrev_nc_u32_e32 v6, s3, v17
	v_mov_b32_e32 v26, v16
	s_delay_alu instid0(VALU_DEP_2) | instskip(NEXT) | instid1(VALU_DEP_1)
	v_sub_nc_u32_e32 v7, 0, v6
	v_max_i32_e32 v7, v6, v7
	s_delay_alu instid0(VALU_DEP_1) | instskip(NEXT) | instid1(VALU_DEP_1)
	v_mul_hi_u32 v8, v7, s67
	v_mul_lo_u32 v9, v8, s58
	s_delay_alu instid0(VALU_DEP_1) | instskip(SKIP_1) | instid1(VALU_DEP_2)
	v_sub_nc_u32_e32 v7, v7, v9
	v_add_nc_u32_e32 v9, 1, v8
	v_subrev_nc_u32_e32 v25, s58, v7
	v_cmp_le_u32_e32 vcc_lo, s58, v7
	s_wait_alu 0xfffd
	s_delay_alu instid0(VALU_DEP_3) | instskip(NEXT) | instid1(VALU_DEP_3)
	v_cndmask_b32_e32 v8, v8, v9, vcc_lo
	v_cndmask_b32_e32 v7, v7, v25, vcc_lo
	v_ashrrev_i32_e32 v9, 31, v6
	s_delay_alu instid0(VALU_DEP_3) | instskip(NEXT) | instid1(VALU_DEP_3)
	v_add_nc_u32_e32 v25, 1, v8
	v_cmp_le_u32_e32 vcc_lo, s58, v7
	s_delay_alu instid0(VALU_DEP_3) | instskip(SKIP_1) | instid1(VALU_DEP_3)
	v_xor_b32_e32 v9, s66, v9
	s_wait_alu 0xfffd
	v_cndmask_b32_e32 v7, v8, v25, vcc_lo
	s_delay_alu instid0(VALU_DEP_1) | instskip(NEXT) | instid1(VALU_DEP_1)
	v_xor_b32_e32 v7, v7, v9
	v_sub_nc_u32_e32 v7, v7, v9
	s_delay_alu instid0(VALU_DEP_1) | instskip(SKIP_3) | instid1(VALU_DEP_3)
	v_mul_lo_u32 v8, v7, s9
	v_add_nc_u32_e32 v9, v7, v24
	v_cmp_gt_i32_e64 s3, s22, v7
	v_cmp_lt_i32_e32 vcc_lo, -1, v7
	v_mul_lo_u32 v25, v9, s23
	v_cmp_eq_u32_e64 s4, v8, v6
	s_and_b32 s73, s2, s4
	s_branch .LBB16_16
.LBB16_15:                              ;   in Loop: Header=BB16_16 Depth=5
	s_wait_alu 0xfffe
	s_or_b32 exec_lo, exec_lo, s5
	s_wait_loadcnt 0x0
	v_fma_f64 v[6:7], v[6:7], v[8:9], v[2:3]
	v_mul_lo_u32 v8, v27, s10
	v_add_co_u32 v4, s5, v4, 8
	s_wait_alu 0xf1ff
	v_add_co_ci_u32_e64 v5, null, 0, v5, s5
	s_add_co_i32 s74, s74, -1
	v_cmp_eq_u32_e64 s4, v26, v8
	v_subrev_nc_u32_e32 v26, s20, v26
	s_and_b32 s4, s73, s4
	s_cmp_eq_u32 s74, 0
	s_wait_alu 0xfffe
	v_cndmask_b32_e64 v3, v3, v7, s4
	v_cndmask_b32_e64 v2, v2, v6, s4
	s_cbranch_scc1 .LBB16_12
.LBB16_16:                              ;   Parent Loop BB16_4 Depth=1
                                        ;     Parent Loop BB16_7 Depth=2
                                        ;       Parent Loop BB16_10 Depth=3
                                        ;         Parent Loop BB16_13 Depth=4
                                        ; =>        This Inner Loop Header: Depth=5
	global_load_b64 v[6:7], v[4:5], off
	v_sub_nc_u32_e32 v8, 0, v26
	s_delay_alu instid0(VALU_DEP_1) | instskip(NEXT) | instid1(VALU_DEP_1)
	v_max_i32_e32 v8, v26, v8
	v_mul_hi_u32 v9, v8, s69
	s_delay_alu instid0(VALU_DEP_1) | instskip(NEXT) | instid1(VALU_DEP_1)
	v_mul_lo_u32 v27, v9, s59
	v_sub_nc_u32_e32 v8, v8, v27
	v_add_nc_u32_e32 v27, 1, v9
	s_delay_alu instid0(VALU_DEP_2) | instskip(SKIP_2) | instid1(VALU_DEP_1)
	v_subrev_nc_u32_e32 v28, s59, v8
	v_cmp_le_u32_e64 s4, s59, v8
	s_wait_alu 0xf1ff
	v_cndmask_b32_e64 v9, v9, v27, s4
	s_delay_alu instid0(VALU_DEP_3) | instskip(SKIP_1) | instid1(VALU_DEP_3)
	v_cndmask_b32_e64 v8, v8, v28, s4
	v_ashrrev_i32_e32 v27, 31, v26
	v_add_nc_u32_e32 v28, 1, v9
	s_delay_alu instid0(VALU_DEP_3) | instskip(NEXT) | instid1(VALU_DEP_3)
	v_cmp_le_u32_e64 s4, s59, v8
	v_xor_b32_e32 v27, s68, v27
	s_wait_alu 0xf1ff
	s_delay_alu instid0(VALU_DEP_2) | instskip(NEXT) | instid1(VALU_DEP_1)
	v_cndmask_b32_e64 v8, v9, v28, s4
	v_xor_b32_e32 v8, v8, v27
	s_delay_alu instid0(VALU_DEP_1) | instskip(SKIP_2) | instid1(VALU_DEP_3)
	v_sub_nc_u32_e32 v27, v8, v27
	v_mov_b32_e32 v8, 0
	v_mov_b32_e32 v9, 0
	v_cmp_lt_i32_e64 s4, -1, v27
	v_cmp_gt_i32_e64 s5, s23, v27
	s_and_b32 s4, s4, vcc_lo
	s_wait_alu 0xfffe
	s_and_b32 s4, s4, s0
	s_wait_alu 0xfffe
	s_and_b32 s4, s5, s4
	s_wait_alu 0xfffe
	s_and_b32 s4, s4, s3
	s_wait_alu 0xfffe
	s_and_b32 s4, s4, s1
	s_wait_alu 0xfffe
	s_and_saveexec_b32 s5, s4
	s_cbranch_execz .LBB16_15
; %bb.17:                               ;   in Loop: Header=BB16_16 Depth=5
	v_add_nc_u32_e32 v8, v27, v25
	s_delay_alu instid0(VALU_DEP_1) | instskip(NEXT) | instid1(VALU_DEP_1)
	v_ashrrev_i32_e32 v9, 31, v8
	v_lshlrev_b64_e32 v[8:9], 3, v[8:9]
	s_delay_alu instid0(VALU_DEP_1) | instskip(SKIP_1) | instid1(VALU_DEP_2)
	v_add_co_u32 v8, s4, v22, v8
	s_wait_alu 0xf1ff
	v_add_co_ci_u32_e64 v9, null, v23, v9, s4
	global_load_b64 v[8:9], v[8:9], off
	s_branch .LBB16_15
.LBB16_18:                              ;   in Loop: Header=BB16_4 Depth=1
	v_mov_b32_e32 v2, 0
	v_mov_b32_e32 v3, 0
	s_branch .LBB16_3
.LBB16_19:
	s_endpgm
	.section	.rodata,"a",@progbits
	.p2align	6, 0x0
	.amdhsa_kernel _ZN2at6native12_GLOBAL__N_143conv_depthwise3d_cuda_backward_input_kernelIddLin1ELin1ELin1ELin1ELin1ELin1ELin1ELin1ELin1EEEvN5torch10headeronly6detail27GenericPackedTensorAccessorINS5_14TensorAccessorIN3c108ArrayRefIlEEKT_Lm4ENS4_16DefaultPtrTraitsEiEENS_6detail16IndexBoundsCheckILm5EiEESC_Lm5ESD_iEENS6_INS7_ISA_SB_Lm4ESD_iEESH_SB_Lm5ESD_iEESI_iiiiiiiii
		.amdhsa_group_segment_fixed_size 0
		.amdhsa_private_segment_fixed_size 0
		.amdhsa_kernarg_size 440
		.amdhsa_user_sgpr_count 2
		.amdhsa_user_sgpr_dispatch_ptr 0
		.amdhsa_user_sgpr_queue_ptr 0
		.amdhsa_user_sgpr_kernarg_segment_ptr 1
		.amdhsa_user_sgpr_dispatch_id 0
		.amdhsa_user_sgpr_private_segment_size 0
		.amdhsa_wavefront_size32 1
		.amdhsa_uses_dynamic_stack 0
		.amdhsa_enable_private_segment 0
		.amdhsa_system_sgpr_workgroup_id_x 1
		.amdhsa_system_sgpr_workgroup_id_y 0
		.amdhsa_system_sgpr_workgroup_id_z 0
		.amdhsa_system_sgpr_workgroup_info 0
		.amdhsa_system_vgpr_workitem_id 0
		.amdhsa_next_free_vgpr 29
		.amdhsa_next_free_sgpr 75
		.amdhsa_reserve_vcc 1
		.amdhsa_float_round_mode_32 0
		.amdhsa_float_round_mode_16_64 0
		.amdhsa_float_denorm_mode_32 3
		.amdhsa_float_denorm_mode_16_64 3
		.amdhsa_fp16_overflow 0
		.amdhsa_workgroup_processor_mode 1
		.amdhsa_memory_ordered 1
		.amdhsa_forward_progress 1
		.amdhsa_inst_pref_size 20
		.amdhsa_round_robin_scheduling 0
		.amdhsa_exception_fp_ieee_invalid_op 0
		.amdhsa_exception_fp_denorm_src 0
		.amdhsa_exception_fp_ieee_div_zero 0
		.amdhsa_exception_fp_ieee_overflow 0
		.amdhsa_exception_fp_ieee_underflow 0
		.amdhsa_exception_fp_ieee_inexact 0
		.amdhsa_exception_int_div_zero 0
	.end_amdhsa_kernel
	.section	.text._ZN2at6native12_GLOBAL__N_143conv_depthwise3d_cuda_backward_input_kernelIddLin1ELin1ELin1ELin1ELin1ELin1ELin1ELin1ELin1EEEvN5torch10headeronly6detail27GenericPackedTensorAccessorINS5_14TensorAccessorIN3c108ArrayRefIlEEKT_Lm4ENS4_16DefaultPtrTraitsEiEENS_6detail16IndexBoundsCheckILm5EiEESC_Lm5ESD_iEENS6_INS7_ISA_SB_Lm4ESD_iEESH_SB_Lm5ESD_iEESI_iiiiiiiii,"axG",@progbits,_ZN2at6native12_GLOBAL__N_143conv_depthwise3d_cuda_backward_input_kernelIddLin1ELin1ELin1ELin1ELin1ELin1ELin1ELin1ELin1EEEvN5torch10headeronly6detail27GenericPackedTensorAccessorINS5_14TensorAccessorIN3c108ArrayRefIlEEKT_Lm4ENS4_16DefaultPtrTraitsEiEENS_6detail16IndexBoundsCheckILm5EiEESC_Lm5ESD_iEENS6_INS7_ISA_SB_Lm4ESD_iEESH_SB_Lm5ESD_iEESI_iiiiiiiii,comdat
.Lfunc_end16:
	.size	_ZN2at6native12_GLOBAL__N_143conv_depthwise3d_cuda_backward_input_kernelIddLin1ELin1ELin1ELin1ELin1ELin1ELin1ELin1ELin1EEEvN5torch10headeronly6detail27GenericPackedTensorAccessorINS5_14TensorAccessorIN3c108ArrayRefIlEEKT_Lm4ENS4_16DefaultPtrTraitsEiEENS_6detail16IndexBoundsCheckILm5EiEESC_Lm5ESD_iEENS6_INS7_ISA_SB_Lm4ESD_iEESH_SB_Lm5ESD_iEESI_iiiiiiiii, .Lfunc_end16-_ZN2at6native12_GLOBAL__N_143conv_depthwise3d_cuda_backward_input_kernelIddLin1ELin1ELin1ELin1ELin1ELin1ELin1ELin1ELin1EEEvN5torch10headeronly6detail27GenericPackedTensorAccessorINS5_14TensorAccessorIN3c108ArrayRefIlEEKT_Lm4ENS4_16DefaultPtrTraitsEiEENS_6detail16IndexBoundsCheckILm5EiEESC_Lm5ESD_iEENS6_INS7_ISA_SB_Lm4ESD_iEESH_SB_Lm5ESD_iEESI_iiiiiiiii
                                        ; -- End function
	.set _ZN2at6native12_GLOBAL__N_143conv_depthwise3d_cuda_backward_input_kernelIddLin1ELin1ELin1ELin1ELin1ELin1ELin1ELin1ELin1EEEvN5torch10headeronly6detail27GenericPackedTensorAccessorINS5_14TensorAccessorIN3c108ArrayRefIlEEKT_Lm4ENS4_16DefaultPtrTraitsEiEENS_6detail16IndexBoundsCheckILm5EiEESC_Lm5ESD_iEENS6_INS7_ISA_SB_Lm4ESD_iEESH_SB_Lm5ESD_iEESI_iiiiiiiii.num_vgpr, 29
	.set _ZN2at6native12_GLOBAL__N_143conv_depthwise3d_cuda_backward_input_kernelIddLin1ELin1ELin1ELin1ELin1ELin1ELin1ELin1ELin1EEEvN5torch10headeronly6detail27GenericPackedTensorAccessorINS5_14TensorAccessorIN3c108ArrayRefIlEEKT_Lm4ENS4_16DefaultPtrTraitsEiEENS_6detail16IndexBoundsCheckILm5EiEESC_Lm5ESD_iEENS6_INS7_ISA_SB_Lm4ESD_iEESH_SB_Lm5ESD_iEESI_iiiiiiiii.num_agpr, 0
	.set _ZN2at6native12_GLOBAL__N_143conv_depthwise3d_cuda_backward_input_kernelIddLin1ELin1ELin1ELin1ELin1ELin1ELin1ELin1ELin1EEEvN5torch10headeronly6detail27GenericPackedTensorAccessorINS5_14TensorAccessorIN3c108ArrayRefIlEEKT_Lm4ENS4_16DefaultPtrTraitsEiEENS_6detail16IndexBoundsCheckILm5EiEESC_Lm5ESD_iEENS6_INS7_ISA_SB_Lm4ESD_iEESH_SB_Lm5ESD_iEESI_iiiiiiiii.numbered_sgpr, 75
	.set _ZN2at6native12_GLOBAL__N_143conv_depthwise3d_cuda_backward_input_kernelIddLin1ELin1ELin1ELin1ELin1ELin1ELin1ELin1ELin1EEEvN5torch10headeronly6detail27GenericPackedTensorAccessorINS5_14TensorAccessorIN3c108ArrayRefIlEEKT_Lm4ENS4_16DefaultPtrTraitsEiEENS_6detail16IndexBoundsCheckILm5EiEESC_Lm5ESD_iEENS6_INS7_ISA_SB_Lm4ESD_iEESH_SB_Lm5ESD_iEESI_iiiiiiiii.num_named_barrier, 0
	.set _ZN2at6native12_GLOBAL__N_143conv_depthwise3d_cuda_backward_input_kernelIddLin1ELin1ELin1ELin1ELin1ELin1ELin1ELin1ELin1EEEvN5torch10headeronly6detail27GenericPackedTensorAccessorINS5_14TensorAccessorIN3c108ArrayRefIlEEKT_Lm4ENS4_16DefaultPtrTraitsEiEENS_6detail16IndexBoundsCheckILm5EiEESC_Lm5ESD_iEENS6_INS7_ISA_SB_Lm4ESD_iEESH_SB_Lm5ESD_iEESI_iiiiiiiii.private_seg_size, 0
	.set _ZN2at6native12_GLOBAL__N_143conv_depthwise3d_cuda_backward_input_kernelIddLin1ELin1ELin1ELin1ELin1ELin1ELin1ELin1ELin1EEEvN5torch10headeronly6detail27GenericPackedTensorAccessorINS5_14TensorAccessorIN3c108ArrayRefIlEEKT_Lm4ENS4_16DefaultPtrTraitsEiEENS_6detail16IndexBoundsCheckILm5EiEESC_Lm5ESD_iEENS6_INS7_ISA_SB_Lm4ESD_iEESH_SB_Lm5ESD_iEESI_iiiiiiiii.uses_vcc, 1
	.set _ZN2at6native12_GLOBAL__N_143conv_depthwise3d_cuda_backward_input_kernelIddLin1ELin1ELin1ELin1ELin1ELin1ELin1ELin1ELin1EEEvN5torch10headeronly6detail27GenericPackedTensorAccessorINS5_14TensorAccessorIN3c108ArrayRefIlEEKT_Lm4ENS4_16DefaultPtrTraitsEiEENS_6detail16IndexBoundsCheckILm5EiEESC_Lm5ESD_iEENS6_INS7_ISA_SB_Lm4ESD_iEESH_SB_Lm5ESD_iEESI_iiiiiiiii.uses_flat_scratch, 0
	.set _ZN2at6native12_GLOBAL__N_143conv_depthwise3d_cuda_backward_input_kernelIddLin1ELin1ELin1ELin1ELin1ELin1ELin1ELin1ELin1EEEvN5torch10headeronly6detail27GenericPackedTensorAccessorINS5_14TensorAccessorIN3c108ArrayRefIlEEKT_Lm4ENS4_16DefaultPtrTraitsEiEENS_6detail16IndexBoundsCheckILm5EiEESC_Lm5ESD_iEENS6_INS7_ISA_SB_Lm4ESD_iEESH_SB_Lm5ESD_iEESI_iiiiiiiii.has_dyn_sized_stack, 0
	.set _ZN2at6native12_GLOBAL__N_143conv_depthwise3d_cuda_backward_input_kernelIddLin1ELin1ELin1ELin1ELin1ELin1ELin1ELin1ELin1EEEvN5torch10headeronly6detail27GenericPackedTensorAccessorINS5_14TensorAccessorIN3c108ArrayRefIlEEKT_Lm4ENS4_16DefaultPtrTraitsEiEENS_6detail16IndexBoundsCheckILm5EiEESC_Lm5ESD_iEENS6_INS7_ISA_SB_Lm4ESD_iEESH_SB_Lm5ESD_iEESI_iiiiiiiii.has_recursion, 0
	.set _ZN2at6native12_GLOBAL__N_143conv_depthwise3d_cuda_backward_input_kernelIddLin1ELin1ELin1ELin1ELin1ELin1ELin1ELin1ELin1EEEvN5torch10headeronly6detail27GenericPackedTensorAccessorINS5_14TensorAccessorIN3c108ArrayRefIlEEKT_Lm4ENS4_16DefaultPtrTraitsEiEENS_6detail16IndexBoundsCheckILm5EiEESC_Lm5ESD_iEENS6_INS7_ISA_SB_Lm4ESD_iEESH_SB_Lm5ESD_iEESI_iiiiiiiii.has_indirect_call, 0
	.section	.AMDGPU.csdata,"",@progbits
; Kernel info:
; codeLenInByte = 2528
; TotalNumSgprs: 77
; NumVgprs: 29
; ScratchSize: 0
; MemoryBound: 0
; FloatMode: 240
; IeeeMode: 1
; LDSByteSize: 0 bytes/workgroup (compile time only)
; SGPRBlocks: 0
; VGPRBlocks: 3
; NumSGPRsForWavesPerEU: 77
; NumVGPRsForWavesPerEU: 29
; Occupancy: 16
; WaveLimiterHint : 0
; COMPUTE_PGM_RSRC2:SCRATCH_EN: 0
; COMPUTE_PGM_RSRC2:USER_SGPR: 2
; COMPUTE_PGM_RSRC2:TRAP_HANDLER: 0
; COMPUTE_PGM_RSRC2:TGID_X_EN: 1
; COMPUTE_PGM_RSRC2:TGID_Y_EN: 0
; COMPUTE_PGM_RSRC2:TGID_Z_EN: 0
; COMPUTE_PGM_RSRC2:TIDIG_COMP_CNT: 0
	.section	.text._ZN2at6native12_GLOBAL__N_143conv_depthwise3d_cuda_backward_input_kernelIffLi3ELi3ELi3ELi1ELi1ELi1ELi1ELi1ELi1EEEvN5torch10headeronly6detail27GenericPackedTensorAccessorINS5_14TensorAccessorIN3c108ArrayRefIlEEKT_Lm4ENS4_16DefaultPtrTraitsEiEENS_6detail16IndexBoundsCheckILm5EiEESC_Lm5ESD_iEENS6_INS7_ISA_SB_Lm4ESD_iEESH_SB_Lm5ESD_iEESI_iiiiiiiii,"axG",@progbits,_ZN2at6native12_GLOBAL__N_143conv_depthwise3d_cuda_backward_input_kernelIffLi3ELi3ELi3ELi1ELi1ELi1ELi1ELi1ELi1EEEvN5torch10headeronly6detail27GenericPackedTensorAccessorINS5_14TensorAccessorIN3c108ArrayRefIlEEKT_Lm4ENS4_16DefaultPtrTraitsEiEENS_6detail16IndexBoundsCheckILm5EiEESC_Lm5ESD_iEENS6_INS7_ISA_SB_Lm4ESD_iEESH_SB_Lm5ESD_iEESI_iiiiiiiii,comdat
	.globl	_ZN2at6native12_GLOBAL__N_143conv_depthwise3d_cuda_backward_input_kernelIffLi3ELi3ELi3ELi1ELi1ELi1ELi1ELi1ELi1EEEvN5torch10headeronly6detail27GenericPackedTensorAccessorINS5_14TensorAccessorIN3c108ArrayRefIlEEKT_Lm4ENS4_16DefaultPtrTraitsEiEENS_6detail16IndexBoundsCheckILm5EiEESC_Lm5ESD_iEENS6_INS7_ISA_SB_Lm4ESD_iEESH_SB_Lm5ESD_iEESI_iiiiiiiii ; -- Begin function _ZN2at6native12_GLOBAL__N_143conv_depthwise3d_cuda_backward_input_kernelIffLi3ELi3ELi3ELi1ELi1ELi1ELi1ELi1ELi1EEEvN5torch10headeronly6detail27GenericPackedTensorAccessorINS5_14TensorAccessorIN3c108ArrayRefIlEEKT_Lm4ENS4_16DefaultPtrTraitsEiEENS_6detail16IndexBoundsCheckILm5EiEESC_Lm5ESD_iEENS6_INS7_ISA_SB_Lm4ESD_iEESH_SB_Lm5ESD_iEESI_iiiiiiiii
	.p2align	8
	.type	_ZN2at6native12_GLOBAL__N_143conv_depthwise3d_cuda_backward_input_kernelIffLi3ELi3ELi3ELi1ELi1ELi1ELi1ELi1ELi1EEEvN5torch10headeronly6detail27GenericPackedTensorAccessorINS5_14TensorAccessorIN3c108ArrayRefIlEEKT_Lm4ENS4_16DefaultPtrTraitsEiEENS_6detail16IndexBoundsCheckILm5EiEESC_Lm5ESD_iEENS6_INS7_ISA_SB_Lm4ESD_iEESH_SB_Lm5ESD_iEESI_iiiiiiiii,@function
_ZN2at6native12_GLOBAL__N_143conv_depthwise3d_cuda_backward_input_kernelIffLi3ELi3ELi3ELi1ELi1ELi1ELi1ELi1ELi1EEEvN5torch10headeronly6detail27GenericPackedTensorAccessorINS5_14TensorAccessorIN3c108ArrayRefIlEEKT_Lm4ENS4_16DefaultPtrTraitsEiEENS_6detail16IndexBoundsCheckILm5EiEESC_Lm5ESD_iEENS6_INS7_ISA_SB_Lm4ESD_iEESH_SB_Lm5ESD_iEESI_iiiiiiiii: ; @_ZN2at6native12_GLOBAL__N_143conv_depthwise3d_cuda_backward_input_kernelIffLi3ELi3ELi3ELi1ELi1ELi1ELi1ELi1ELi1EEEvN5torch10headeronly6detail27GenericPackedTensorAccessorINS5_14TensorAccessorIN3c108ArrayRefIlEEKT_Lm4ENS4_16DefaultPtrTraitsEiEENS_6detail16IndexBoundsCheckILm5EiEESC_Lm5ESD_iEENS6_INS7_ISA_SB_Lm4ESD_iEESH_SB_Lm5ESD_iEESI_iiiiiiiii
; %bb.0:
	s_clause 0x2
	s_load_b128 s[4:7], s[0:1], 0x38
	s_load_b32 s2, s[0:1], 0xc4
	s_load_b64 s[20:21], s[0:1], 0x48
	v_mov_b32_e32 v1, 0
	s_wait_kmcnt 0x0
	s_abs_i32 s33, s5
	s_and_b32 s2, s2, 0xffff
	s_cvt_f32_u32 s3, s33
	v_mad_co_u64_u32 v[0:1], null, s2, ttmp9, v[0:1]
	s_mul_i32 s22, s21, s4
	s_delay_alu instid0(SALU_CYCLE_1) | instskip(SKIP_2) | instid1(TRANS32_DEP_1)
	v_rcp_iflag_f32_e32 v2, s3
	s_ashr_i32 s23, s22, 31
	s_mov_b32 s4, exec_lo
	v_readfirstlane_b32 s3, v2
	v_cmpx_gt_i64_e64 s[22:23], v[0:1]
	s_cbranch_execz .LBB17_62
; %bb.1:
	s_clause 0x1
	s_load_b128 s[8:11], s[0:1], 0xc
	s_load_b64 s[24:25], s[0:1], 0x0
	s_mul_f32 s3, s3, 0x4f7ffffe
	s_sub_co_i32 s4, 0, s33
	s_mov_b32 s19, 0
	s_ashr_i32 s34, s5, 31
	s_wait_alu 0xfffe
	s_cvt_u32_f32 s3, s3
	s_mov_b32 s13, s19
	v_readfirstlane_b32 s26, v2
	s_add_nc_u64 s[14:15], s[0:1], 0xb8
	s_wait_alu 0xfffe
	s_mul_i32 s12, s4, s3
	s_delay_alu instid0(SALU_CYCLE_1) | instskip(NEXT) | instid1(SALU_CYCLE_1)
	s_mul_hi_u32 s12, s3, s12
	s_add_co_i32 s12, s3, s12
	s_wait_kmcnt 0x0
	s_abs_i32 s18, s8
	s_ashr_i32 s3, s8, 31
	s_mul_u64 s[12:13], s[18:19], s[12:13]
	s_wait_alu 0xfffe
	s_xor_b32 s3, s3, s34
	s_mul_i32 s8, s13, s33
	s_add_co_i32 s12, s13, 1
	s_sub_co_i32 s8, s18, s8
	s_delay_alu instid0(SALU_CYCLE_1)
	s_sub_co_i32 s16, s8, s33
	s_cmp_ge_u32 s8, s33
	s_cselect_b32 s12, s12, s13
	s_cselect_b32 s8, s16, s8
	s_add_co_i32 s13, s12, 1
	s_cmp_ge_u32 s8, s33
	s_clause 0x1
	s_load_b96 s[16:18], s[0:1], 0x9c
	s_load_b32 s8, s[0:1], 0x7c
	s_cselect_b32 s12, s13, s12
	s_load_b32 s40, s[14:15], 0x0
	s_xor_b32 s12, s12, s3
	s_mul_f32 s13, s26, 0x4f7ffffe
	s_sub_co_i32 s35, s12, s3
	s_clause 0x1
	s_load_b64 s[26:27], s[0:1], 0x1c
	s_load_b64 s[28:29], s[0:1], 0x30
	s_cmp_gt_i32 s35, 0
	s_cvt_u32_f32 s3, s13
	s_cselect_b32 s36, -1, 0
	s_abs_i32 s37, s20
	s_abs_i32 s38, s7
	;; [unrolled: 1-line block ×3, first 2 shown]
	s_cvt_f32_u32 s12, s37
	s_cvt_f32_u32 s13, s38
	;; [unrolled: 1-line block ×3, first 2 shown]
	s_wait_alu 0xfffe
	s_mul_i32 s4, s4, s3
	v_rcp_iflag_f32_e32 v2, s12
	v_rcp_iflag_f32_e32 v3, s13
	;; [unrolled: 1-line block ×3, first 2 shown]
	s_clause 0x1
	s_load_b64 s[30:31], s[0:1], 0x60
	s_load_b128 s[12:15], s[0:1], 0x50
	s_mul_hi_u32 s0, s3, s4
	s_wait_kmcnt 0x0
	s_mul_i32 s40, s40, s2
	s_wait_alu 0xfffe
	s_add_co_i32 s44, s3, s0
	s_sub_co_i32 s3, 0, s37
	s_sub_co_i32 s4, 0, s38
	;; [unrolled: 1-line block ×3, first 2 shown]
	v_readfirstlane_b32 s0, v2
	v_readfirstlane_b32 s1, v3
	v_readfirstlane_b32 s2, v4
	s_ashr_i32 s41, s20, 31
	s_ashr_i32 s42, s7, 31
	s_mul_f32 s0, s0, 0x4f7ffffe
	s_mul_f32 s1, s1, 0x4f7ffffe
	;; [unrolled: 1-line block ×3, first 2 shown]
	s_ashr_i32 s43, s6, 31
	s_wait_alu 0xfffe
	s_cvt_u32_f32 s0, s0
	s_cvt_u32_f32 s1, s1
	;; [unrolled: 1-line block ×3, first 2 shown]
	s_mul_i32 s48, s27, s35
	s_wait_alu 0xfffe
	s_mul_i32 s3, s3, s0
	s_mul_i32 s4, s4, s1
	;; [unrolled: 1-line block ×3, first 2 shown]
	s_wait_alu 0xfffe
	s_mul_hi_u32 s3, s0, s3
	s_mul_hi_u32 s4, s1, s4
	;; [unrolled: 1-line block ×3, first 2 shown]
	s_wait_alu 0xfffe
	s_add_co_i32 s45, s0, s3
	s_add_co_i32 s46, s1, s4
	;; [unrolled: 1-line block ×3, first 2 shown]
	s_branch .LBB17_4
.LBB17_2:                               ;   in Loop: Header=BB17_4 Depth=1
	s_or_b32 exec_lo, exec_lo, s71
.LBB17_3:                               ;   in Loop: Header=BB17_4 Depth=1
	v_mul_lo_u32 v2, v63, s21
	v_mul_lo_u32 v4, s12, v64
	;; [unrolled: 1-line block ×4, first 2 shown]
	v_add_co_u32 v0, vcc_lo, v0, s40
	s_wait_alu 0xfffd
	v_add_co_ci_u32_e64 v1, null, 0, v1, vcc_lo
	v_ashrrev_i32_e32 v3, 31, v2
	v_ashrrev_i32_e32 v5, 31, v4
	v_ashrrev_i32_e32 v7, 31, v6
	v_mul_lo_u32 v10, s15, v60
	v_ashrrev_i32_e32 v9, 31, v8
	v_lshlrev_b64_e32 v[2:3], 2, v[2:3]
	v_lshlrev_b64_e32 v[4:5], 2, v[4:5]
	s_delay_alu instid0(VALU_DEP_4) | instskip(NEXT) | instid1(VALU_DEP_3)
	v_ashrrev_i32_e32 v11, 31, v10
	v_add_co_u32 v12, vcc_lo, s28, v2
	s_wait_alu 0xfffd
	s_delay_alu instid0(VALU_DEP_4) | instskip(SKIP_1) | instid1(VALU_DEP_3)
	v_add_co_ci_u32_e64 v13, null, s29, v3, vcc_lo
	v_lshlrev_b64_e32 v[2:3], 2, v[6:7]
	v_add_co_u32 v6, vcc_lo, v12, v4
	s_wait_alu 0xfffd
	s_delay_alu instid0(VALU_DEP_3) | instskip(SKIP_1) | instid1(VALU_DEP_3)
	v_add_co_ci_u32_e64 v7, null, v13, v5, vcc_lo
	v_lshlrev_b64_e32 v[4:5], 2, v[8:9]
	v_add_co_u32 v6, vcc_lo, v6, v2
	s_wait_alu 0xfffd
	s_delay_alu instid0(VALU_DEP_3) | instskip(SKIP_1) | instid1(VALU_DEP_3)
	;; [unrolled: 5-line block ×3, first 2 shown]
	v_add_co_ci_u32_e64 v5, null, v7, v5, vcc_lo
	v_cmp_le_i64_e32 vcc_lo, s[22:23], v[0:1]
	v_add_co_u32 v2, s0, v4, v2
	s_wait_alu 0xf1ff
	s_delay_alu instid0(VALU_DEP_3)
	v_add_co_ci_u32_e64 v3, null, v5, v3, s0
	s_or_b32 s19, vcc_lo, s19
	global_store_b32 v[2:3], v69, off
	s_wait_alu 0xfffe
	s_and_not1_b32 exec_lo, exec_lo, s19
	s_cbranch_execz .LBB17_62
.LBB17_4:                               ; =>This Loop Header: Depth=1
                                        ;     Child Loop BB17_7 Depth 2
	v_sub_nc_u32_e32 v2, 0, v0
	s_delay_alu instid0(VALU_DEP_1) | instskip(NEXT) | instid1(VALU_DEP_1)
	v_max_i32_e32 v2, v0, v2
	v_mul_hi_u32 v3, v2, s45
	s_delay_alu instid0(VALU_DEP_1) | instskip(NEXT) | instid1(VALU_DEP_1)
	v_mul_lo_u32 v4, v3, s37
	v_sub_nc_u32_e32 v2, v2, v4
	v_add_nc_u32_e32 v4, 1, v3
	s_delay_alu instid0(VALU_DEP_2) | instskip(SKIP_2) | instid1(VALU_DEP_2)
	v_subrev_nc_u32_e32 v5, s37, v2
	v_cmp_le_u32_e32 vcc_lo, s37, v2
	s_wait_alu 0xfffd
	v_dual_cndmask_b32 v3, v3, v4 :: v_dual_cndmask_b32 v2, v2, v5
	v_ashrrev_i32_e32 v4, 31, v0
	s_delay_alu instid0(VALU_DEP_2) | instskip(NEXT) | instid1(VALU_DEP_3)
	v_add_nc_u32_e32 v5, 1, v3
	v_cmp_le_u32_e32 vcc_lo, s37, v2
	s_delay_alu instid0(VALU_DEP_3) | instskip(SKIP_1) | instid1(VALU_DEP_3)
	v_xor_b32_e32 v4, s41, v4
	s_wait_alu 0xfffd
	v_cndmask_b32_e32 v2, v3, v5, vcc_lo
	s_delay_alu instid0(VALU_DEP_1) | instskip(NEXT) | instid1(VALU_DEP_1)
	v_xor_b32_e32 v2, v2, v4
	v_sub_nc_u32_e32 v2, v2, v4
	s_delay_alu instid0(VALU_DEP_1) | instskip(NEXT) | instid1(VALU_DEP_1)
	v_sub_nc_u32_e32 v3, 0, v2
	v_max_i32_e32 v3, v2, v3
	s_delay_alu instid0(VALU_DEP_1) | instskip(NEXT) | instid1(VALU_DEP_1)
	v_mul_hi_u32 v4, v3, s46
	v_mul_lo_u32 v5, v4, s38
	s_delay_alu instid0(VALU_DEP_1) | instskip(SKIP_1) | instid1(VALU_DEP_2)
	v_sub_nc_u32_e32 v3, v3, v5
	v_add_nc_u32_e32 v5, 1, v4
	v_subrev_nc_u32_e32 v6, s38, v3
	v_cmp_le_u32_e32 vcc_lo, s38, v3
	s_wait_alu 0xfffd
	s_delay_alu instid0(VALU_DEP_2) | instskip(SKIP_1) | instid1(VALU_DEP_2)
	v_dual_cndmask_b32 v4, v4, v5 :: v_dual_cndmask_b32 v3, v3, v6
	v_ashrrev_i32_e32 v5, 31, v2
	v_add_nc_u32_e32 v6, 1, v4
	s_delay_alu instid0(VALU_DEP_3) | instskip(NEXT) | instid1(VALU_DEP_3)
	v_cmp_le_u32_e32 vcc_lo, s38, v3
	v_xor_b32_e32 v5, s42, v5
	s_wait_alu 0xfffd
	s_delay_alu instid0(VALU_DEP_3) | instskip(NEXT) | instid1(VALU_DEP_1)
	v_cndmask_b32_e32 v3, v4, v6, vcc_lo
	v_xor_b32_e32 v3, v3, v5
	s_delay_alu instid0(VALU_DEP_1) | instskip(NEXT) | instid1(VALU_DEP_1)
	v_sub_nc_u32_e32 v3, v3, v5
	v_sub_nc_u32_e32 v4, 0, v3
	s_delay_alu instid0(VALU_DEP_1) | instskip(NEXT) | instid1(VALU_DEP_1)
	v_max_i32_e32 v4, v3, v4
	v_mul_hi_u32 v5, v4, s47
	s_delay_alu instid0(VALU_DEP_1) | instskip(NEXT) | instid1(VALU_DEP_1)
	v_mul_lo_u32 v6, v5, s39
	v_sub_nc_u32_e32 v4, v4, v6
	v_add_nc_u32_e32 v6, 1, v5
	s_delay_alu instid0(VALU_DEP_2) | instskip(SKIP_2) | instid1(VALU_DEP_2)
	v_subrev_nc_u32_e32 v7, s39, v4
	v_cmp_le_u32_e32 vcc_lo, s39, v4
	s_wait_alu 0xfffd
	v_dual_cndmask_b32 v5, v5, v6 :: v_dual_cndmask_b32 v4, v4, v7
	v_ashrrev_i32_e32 v6, 31, v3
	s_delay_alu instid0(VALU_DEP_2) | instskip(NEXT) | instid1(VALU_DEP_3)
	v_add_nc_u32_e32 v7, 1, v5
	v_cmp_le_u32_e32 vcc_lo, s39, v4
	s_delay_alu instid0(VALU_DEP_3) | instskip(SKIP_1) | instid1(VALU_DEP_3)
	v_xor_b32_e32 v6, s43, v6
	s_wait_alu 0xfffd
	v_cndmask_b32_e32 v4, v5, v7, vcc_lo
	s_delay_alu instid0(VALU_DEP_1) | instskip(NEXT) | instid1(VALU_DEP_1)
	v_xor_b32_e32 v4, v4, v6
	v_sub_nc_u32_e32 v4, v4, v6
	s_delay_alu instid0(VALU_DEP_1) | instskip(NEXT) | instid1(VALU_DEP_1)
	v_sub_nc_u32_e32 v5, 0, v4
	v_max_i32_e32 v5, v4, v5
	s_delay_alu instid0(VALU_DEP_1) | instskip(NEXT) | instid1(VALU_DEP_1)
	v_mul_hi_u32 v6, v5, s44
	v_mul_lo_u32 v7, v6, s33
	s_delay_alu instid0(VALU_DEP_1) | instskip(SKIP_1) | instid1(VALU_DEP_2)
	v_sub_nc_u32_e32 v5, v5, v7
	v_add_nc_u32_e32 v7, 1, v6
	v_subrev_nc_u32_e32 v8, s33, v5
	v_cmp_le_u32_e32 vcc_lo, s33, v5
	s_wait_alu 0xfffd
	s_delay_alu instid0(VALU_DEP_2) | instskip(SKIP_1) | instid1(VALU_DEP_2)
	v_dual_cndmask_b32 v6, v6, v7 :: v_dual_cndmask_b32 v5, v5, v8
	v_ashrrev_i32_e32 v7, 31, v4
	v_add_nc_u32_e32 v8, 1, v6
	s_delay_alu instid0(VALU_DEP_3) | instskip(NEXT) | instid1(VALU_DEP_3)
	v_cmp_le_u32_e32 vcc_lo, s33, v5
	v_xor_b32_e32 v7, s34, v7
	s_wait_alu 0xfffd
	s_delay_alu instid0(VALU_DEP_3) | instskip(SKIP_2) | instid1(VALU_DEP_2)
	v_cndmask_b32_e32 v5, v6, v8, vcc_lo
	v_mul_lo_u32 v6, v3, s7
	s_and_not1_b32 vcc_lo, exec_lo, s36
	v_xor_b32_e32 v5, v5, v7
	s_delay_alu instid0(VALU_DEP_2) | instskip(NEXT) | instid1(VALU_DEP_2)
	v_sub_nc_u32_e32 v61, v2, v6
	v_sub_nc_u32_e32 v63, v5, v7
	v_mul_lo_u32 v5, v2, s20
	v_mul_lo_u32 v7, v4, s6
	s_delay_alu instid0(VALU_DEP_3) | instskip(NEXT) | instid1(VALU_DEP_3)
	v_mul_lo_u32 v8, v63, s5
	v_sub_nc_u32_e32 v60, v0, v5
	s_delay_alu instid0(VALU_DEP_3) | instskip(NEXT) | instid1(VALU_DEP_3)
	v_sub_nc_u32_e32 v62, v3, v7
	v_sub_nc_u32_e32 v64, v4, v8
	s_wait_alu 0xfffe
	s_cbranch_vccnz .LBB17_61
; %bb.5:                                ;   in Loop: Header=BB17_4 Depth=1
	s_delay_alu instid0(VALU_DEP_1) | instskip(SKIP_4) | instid1(VALU_DEP_3)
	v_mul_lo_u32 v65, v64, s35
	v_mul_lo_u32 v2, s26, v63
	v_add_nc_u32_e32 v7, s16, v62
	v_add_nc_u32_e32 v37, s17, v61
	v_dual_mov_b32 v69, 0 :: v_dual_add_nc_u32 v4, s18, v60
	v_mul_lo_u32 v21, v7, s10
	v_mul_lo_u32 v5, s8, v65
	v_ashrrev_i32_e32 v3, 31, v2
	s_delay_alu instid0(VALU_DEP_4)
	v_or_b32_e32 v8, v4, v37
	v_add_nc_u32_e32 v55, -1, v4
	v_cmp_gt_i32_e64 s0, s10, v37
	v_add_nc_u32_e32 v41, -2, v7
	v_lshlrev_b64_e32 v[2:3], 2, v[2:3]
	v_add_nc_u32_e32 v9, v37, v21
	v_ashrrev_i32_e32 v6, 31, v5
	v_add_nc_u32_e32 v23, -1, v7
	v_cmp_gt_i32_e32 vcc_lo, s9, v7
	v_add_nc_u32_e32 v57, -2, v4
	v_add_co_u32 v67, s1, s24, v2
	v_lshlrev_b64_e32 v[5:6], 2, v[5:6]
	s_wait_alu 0xf1ff
	v_add_co_ci_u32_e64 v68, null, s25, v3, s1
	v_mul_lo_u32 v10, v9, s11
	v_or_b32_e32 v9, v55, v37
	v_or_b32_e32 v42, v8, v41
	v_add_co_u32 v2, s1, s30, v5
	v_or_b32_e32 v5, v8, v7
	s_wait_alu 0xf1ff
	v_add_co_ci_u32_e64 v3, null, s31, v6, s1
	v_cmp_gt_i32_e64 s1, s11, v4
	v_or_b32_e32 v22, v8, v23
	v_cmp_lt_i32_e64 s2, -1, v5
	v_or_b32_e32 v8, v9, v7
	v_or_b32_e32 v11, v57, v37
	s_and_b32 s64, s1, s0
	v_add_nc_u32_e32 v44, -1, v37
	s_and_b32 s2, s64, s2
	v_cmp_lt_i32_e64 s3, -1, v8
	s_wait_alu 0xfffe
	s_and_b32 s49, s2, vcc_lo
	v_cmp_gt_i32_e64 s2, s11, v55
	v_or_b32_e32 v12, v11, v7
	v_or_b32_e32 v13, v4, v44
	;; [unrolled: 1-line block ×3, first 2 shown]
	v_add_nc_u32_e32 v14, v44, v21
	s_and_b32 s65, s2, s0
	v_cmp_lt_i32_e64 s4, -1, v12
	s_and_b32 s3, s65, s3
	v_or_b32_e32 v12, v13, v7
	s_wait_alu 0xfffe
	s_and_b32 s50, s3, vcc_lo
	v_cmp_gt_i32_e64 s3, s11, v57
	v_mul_lo_u32 v17, v14, s11
	v_or_b32_e32 v14, v15, v7
	v_or_b32_e32 v16, v57, v44
	v_add_nc_u32_e32 v49, -2, v37
	s_and_b32 s66, s3, s0
	v_cmp_gt_i32_e64 s0, s10, v44
	s_and_b32 s4, s66, s4
	v_or_b32_e32 v18, v16, v7
	s_wait_alu 0xfffe
	s_and_b32 s51, s4, vcc_lo
	v_cmp_lt_i32_e64 s4, -1, v12
	s_and_b32 s67, s1, s0
	s_and_b32 s68, s2, s0
	v_or_b32_e32 v24, v55, v49
	s_and_b32 s69, s3, s0
	s_and_b32 s4, s67, s4
	v_or_b32_e32 v19, v4, v49
	s_wait_alu 0xfffe
	s_and_b32 s52, s4, vcc_lo
	v_cmp_lt_i32_e64 s4, -1, v14
	v_or_b32_e32 v20, v24, v7
	v_or_b32_e32 v26, v57, v49
	;; [unrolled: 1-line block ×4, first 2 shown]
	s_and_b32 s4, s68, s4
	v_or_b32_e32 v28, v13, v23
	s_wait_alu 0xfffe
	s_and_b32 s53, s4, vcc_lo
	v_cmp_lt_i32_e64 s4, -1, v18
	v_add_nc_u32_e32 v18, v49, v21
	v_or_b32_e32 v29, v15, v23
	v_or_b32_e32 v33, v16, v23
	;; [unrolled: 1-line block ×3, first 2 shown]
	s_and_b32 s0, s69, s4
	v_mul_lo_u32 v30, v18, s11
	s_wait_alu 0xfffe
	s_and_b32 s54, s0, vcc_lo
	v_cmp_gt_i32_e64 s0, s10, v49
	v_or_b32_e32 v18, v19, v7
	v_or_b32_e32 v7, v26, v7
	;; [unrolled: 1-line block ×4, first 2 shown]
	s_and_b32 s70, s1, s0
	v_cmp_lt_i32_e64 s1, -1, v20
	s_and_b32 s71, s2, s0
	v_cmp_lt_i32_e64 s4, -1, v18
	;; [unrolled: 2-line block ×3, first 2 shown]
	s_and_b32 s1, s71, s1
	v_or_b32_e32 v43, v9, v41
	s_wait_alu 0xfffe
	s_and_b32 s2, s1, vcc_lo
	v_cmp_lt_i32_e64 s1, -1, v7
	s_and_b32 s4, s70, s4
	s_and_b32 s0, s64, s0
	s_wait_alu 0xfffe
	s_and_b32 s4, s4, vcc_lo
	v_subrev_nc_u32_e32 v35, s10, v21
	s_and_b32 s3, s72, s1
	v_cmp_gt_i32_e64 s1, s9, v23
	s_wait_alu 0xfffe
	s_and_b32 s3, s3, vcc_lo
	v_cmp_lt_i32_e32 vcc_lo, -1, v25
	v_or_b32_e32 v45, v11, v41
	v_subrev_nc_u32_e32 v52, s10, v35
	s_and_b32 s55, s0, s1
	v_or_b32_e32 v46, v13, v41
	s_and_b32 s0, s65, vcc_lo
	v_cmp_lt_i32_e32 vcc_lo, -1, v27
	s_wait_alu 0xfffe
	s_and_b32 s56, s0, s1
	v_cmp_lt_i32_e64 s0, -1, v28
	v_or_b32_e32 v47, v15, v41
	v_or_b32_e32 v56, v24, v41
	s_and_b32 s57, s66, vcc_lo
	v_cmp_lt_i32_e32 vcc_lo, -1, v29
	s_and_b32 s0, s67, s0
	s_and_b32 s57, s57, s1
	s_wait_alu 0xfffe
	s_and_b32 s58, s0, s1
	v_add_nc_u32_e32 v24, v37, v35
	s_and_b32 s0, s68, vcc_lo
	v_cmp_lt_i32_e32 vcc_lo, -1, v33
	s_wait_alu 0xfffe
	s_and_b32 s59, s0, s1
	v_cmp_lt_i32_e64 s0, -1, v34
	v_add_nc_u32_e32 v25, v44, v35
	v_add_nc_u32_e32 v40, v49, v35
	s_and_b32 s60, s69, vcc_lo
	v_cmp_lt_i32_e32 vcc_lo, -1, v38
	s_and_b32 s0, s70, s0
	s_and_b32 s60, s60, s1
	s_wait_alu 0xfffe
	s_and_b32 s61, s0, s1
	v_cmp_lt_i32_e64 s0, -1, v39
	s_and_b32 s62, s71, vcc_lo
	v_cmp_lt_i32_e32 vcc_lo, -1, v42
	s_and_b32 s62, s62, s1
	v_add_nc_u32_e32 v48, v37, v52
	s_and_b32 s0, s72, s0
	v_add_nc_u32_e32 v53, v44, v52
	s_wait_alu 0xfffe
	s_and_b32 s63, s0, s1
	v_cmp_gt_i32_e64 s0, s9, v41
	s_and_b32 s1, s64, vcc_lo
	v_cmp_lt_i32_e32 vcc_lo, -1, v43
	v_add_nc_u32_e32 v52, v49, v52
	v_or_b32_e32 v50, v16, v41
	s_wait_alu 0xfffe
	s_and_b32 s64, s1, s0
	v_add_nc_u32_e32 v18, v4, v30
	s_and_b32 s1, s65, vcc_lo
	v_cmp_lt_i32_e32 vcc_lo, -1, v45
	s_wait_alu 0xfffe
	s_and_b32 s65, s1, s0
	v_cmp_lt_i32_e64 s1, -1, v46
	v_add_nc_u32_e32 v20, v55, v30
	v_add_nc_u32_e32 v22, v57, v30
	s_and_b32 s66, s66, vcc_lo
	v_cmp_lt_i32_e32 vcc_lo, -1, v47
	v_mul_lo_u32 v30, v24, s11
	v_mul_lo_u32 v36, v25, s11
	;; [unrolled: 1-line block ×6, first 2 shown]
	s_and_b32 s1, s67, s1
	v_or_b32_e32 v51, v19, v41
	s_wait_alu 0xfffe
	s_and_b32 s67, s1, s0
	s_and_b32 s1, s68, vcc_lo
	v_cmp_lt_i32_e32 vcc_lo, -1, v50
	v_add_nc_u32_e32 v5, v4, v10
	v_add_nc_u32_e32 v8, v55, v10
	;; [unrolled: 1-line block ×6, first 2 shown]
	v_or_b32_e32 v7, v26, v41
	v_add_nc_u32_e32 v24, v4, v30
	v_add_nc_u32_e32 v26, v55, v30
	;; [unrolled: 1-line block ×13, first 2 shown]
	s_wait_alu 0xfffe
	s_and_b32 s68, s1, s0
	v_add_nc_u32_e32 v50, v55, v53
	v_cmp_lt_i32_e64 s1, -1, v51
	v_add_nc_u32_e32 v52, v57, v53
	s_and_b32 s69, s69, vcc_lo
	v_add_nc_u32_e32 v54, v4, v58
	v_cmp_lt_i32_e32 vcc_lo, -1, v56
	v_add_nc_u32_e32 v56, v55, v58
	v_add_nc_u32_e32 v58, v57, v58
	v_ashrrev_i32_e32 v6, 31, v5
	v_ashrrev_i32_e32 v9, 31, v8
	;; [unrolled: 1-line block ×23, first 2 shown]
	s_and_b32 s1, s70, s1
	v_ashrrev_i32_e32 v53, 31, v52
	v_ashrrev_i32_e32 v55, 31, v54
	;; [unrolled: 1-line block ×4, first 2 shown]
	s_wait_alu 0xfffe
	s_and_b32 s70, s1, s0
	v_cmp_lt_i32_e64 s1, -1, v7
	v_mul_lo_u32 v4, s48, v64
	v_lshlrev_b64_e32 v[6:7], 2, v[5:6]
	v_lshlrev_b64_e32 v[8:9], 2, v[8:9]
	;; [unrolled: 1-line block ×27, first 2 shown]
	v_add_nc_u32_e32 v66, s35, v65
	s_and_b32 s71, s71, vcc_lo
	s_and_b32 s72, s72, s1
	s_and_b32 s66, s66, s0
	;; [unrolled: 1-line block ×5, first 2 shown]
	s_mov_b32 s71, 0
	s_branch .LBB17_7
.LBB17_6:                               ;   in Loop: Header=BB17_7 Depth=2
	s_wait_alu 0xfffe
	s_or_b32 exec_lo, exec_lo, s0
	s_wait_loadcnt 0x1a
	v_dual_fmac_f32 v69, v70, v5 :: v_dual_add_nc_u32 v4, s27, v4
	v_add_nc_u32_e32 v65, 1, v65
	v_add_co_u32 v2, s0, 0x6c, v2
	s_wait_loadcnt 0x19
	s_delay_alu instid0(VALU_DEP_3)
	v_fmac_f32_e32 v69, v73, v75
	s_wait_alu 0xf1ff
	v_add_co_ci_u32_e64 v3, null, 0, v3, s0
	v_cmp_ge_i32_e32 vcc_lo, v65, v66
	s_wait_loadcnt 0x18
	v_fmac_f32_e32 v69, v76, v74
	s_or_b32 s71, vcc_lo, s71
	s_wait_loadcnt 0x17
	s_delay_alu instid0(VALU_DEP_1) | instskip(SKIP_1) | instid1(VALU_DEP_1)
	v_fmac_f32_e32 v69, v77, v79
	s_wait_loadcnt 0x16
	v_fmac_f32_e32 v69, v80, v78
	s_wait_loadcnt 0x15
	s_delay_alu instid0(VALU_DEP_1) | instskip(SKIP_1) | instid1(VALU_DEP_1)
	v_fmac_f32_e32 v69, v81, v83
	s_wait_loadcnt 0x14
	v_fmac_f32_e32 v69, v84, v82
	;; [unrolled: 5-line block ×12, first 2 shown]
	s_and_not1_b32 exec_lo, exec_lo, s71
	s_cbranch_execz .LBB17_2
.LBB17_7:                               ;   Parent Loop BB17_4 Depth=1
                                        ; =>  This Inner Loop Header: Depth=2
	global_load_b32 v70, v[2:3], off
	v_ashrrev_i32_e32 v5, 31, v4
	s_delay_alu instid0(VALU_DEP_1) | instskip(SKIP_1) | instid1(VALU_DEP_2)
	v_lshlrev_b64_e32 v[71:72], 2, v[4:5]
	v_mov_b32_e32 v5, 0
	v_add_co_u32 v71, vcc_lo, v67, v71
	s_wait_alu 0xfffd
	s_delay_alu instid0(VALU_DEP_3)
	v_add_co_ci_u32_e64 v72, null, v68, v72, vcc_lo
	s_and_saveexec_b32 s0, s49
	s_cbranch_execz .LBB17_9
; %bb.8:                                ;   in Loop: Header=BB17_7 Depth=2
	v_add_co_u32 v73, vcc_lo, v71, v6
	s_wait_alu 0xfffd
	v_add_co_ci_u32_e64 v74, null, v72, v7, vcc_lo
	global_load_b32 v5, v[73:74], off
.LBB17_9:                               ;   in Loop: Header=BB17_7 Depth=2
	s_wait_alu 0xfffe
	s_or_b32 exec_lo, exec_lo, s0
	global_load_b32 v73, v[2:3], off offset:4
	v_dual_mov_b32 v74, 0 :: v_dual_mov_b32 v75, 0
	s_and_saveexec_b32 s0, s50
	s_cbranch_execz .LBB17_11
; %bb.10:                               ;   in Loop: Header=BB17_7 Depth=2
	v_add_co_u32 v75, vcc_lo, v71, v8
	s_wait_alu 0xfffd
	v_add_co_ci_u32_e64 v76, null, v72, v9, vcc_lo
	global_load_b32 v75, v[75:76], off
.LBB17_11:                              ;   in Loop: Header=BB17_7 Depth=2
	s_wait_alu 0xfffe
	s_or_b32 exec_lo, exec_lo, s0
	global_load_b32 v76, v[2:3], off offset:8
	s_and_saveexec_b32 s0, s51
	s_cbranch_execz .LBB17_13
; %bb.12:                               ;   in Loop: Header=BB17_7 Depth=2
	v_add_co_u32 v77, vcc_lo, v71, v10
	s_wait_alu 0xfffd
	v_add_co_ci_u32_e64 v78, null, v72, v11, vcc_lo
	global_load_b32 v74, v[77:78], off
.LBB17_13:                              ;   in Loop: Header=BB17_7 Depth=2
	s_wait_alu 0xfffe
	s_or_b32 exec_lo, exec_lo, s0
	global_load_b32 v77, v[2:3], off offset:12
	v_dual_mov_b32 v78, 0 :: v_dual_mov_b32 v79, 0
	s_and_saveexec_b32 s0, s52
	s_cbranch_execz .LBB17_15
; %bb.14:                               ;   in Loop: Header=BB17_7 Depth=2
	v_add_co_u32 v79, vcc_lo, v71, v12
	s_wait_alu 0xfffd
	v_add_co_ci_u32_e64 v80, null, v72, v13, vcc_lo
	global_load_b32 v79, v[79:80], off
.LBB17_15:                              ;   in Loop: Header=BB17_7 Depth=2
	s_wait_alu 0xfffe
	s_or_b32 exec_lo, exec_lo, s0
	global_load_b32 v80, v[2:3], off offset:16
	s_and_saveexec_b32 s0, s53
	s_cbranch_execz .LBB17_17
; %bb.16:                               ;   in Loop: Header=BB17_7 Depth=2
	v_add_co_u32 v81, vcc_lo, v71, v14
	s_wait_alu 0xfffd
	v_add_co_ci_u32_e64 v82, null, v72, v15, vcc_lo
	global_load_b32 v78, v[81:82], off
.LBB17_17:                              ;   in Loop: Header=BB17_7 Depth=2
	;; [unrolled: 23-line block ×12, first 2 shown]
	s_wait_alu 0xfffe
	s_or_b32 exec_lo, exec_lo, s0
	global_load_b32 v121, v[2:3], off offset:100
	v_dual_mov_b32 v122, 0 :: v_dual_mov_b32 v123, 0
	s_and_saveexec_b32 s0, s1
	s_cbranch_execz .LBB17_59
; %bb.58:                               ;   in Loop: Header=BB17_7 Depth=2
	v_add_co_u32 v123, vcc_lo, v71, v56
	s_wait_alu 0xfffd
	v_add_co_ci_u32_e64 v124, null, v72, v57, vcc_lo
	global_load_b32 v123, v[123:124], off
.LBB17_59:                              ;   in Loop: Header=BB17_7 Depth=2
	s_wait_alu 0xfffe
	s_or_b32 exec_lo, exec_lo, s0
	global_load_b32 v124, v[2:3], off offset:104
	s_and_saveexec_b32 s0, s72
	s_cbranch_execz .LBB17_6
; %bb.60:                               ;   in Loop: Header=BB17_7 Depth=2
	v_add_co_u32 v71, vcc_lo, v71, v58
	s_wait_alu 0xfffd
	v_add_co_ci_u32_e64 v72, null, v72, v59, vcc_lo
	global_load_b32 v122, v[71:72], off
	s_branch .LBB17_6
.LBB17_61:                              ;   in Loop: Header=BB17_4 Depth=1
	v_mov_b32_e32 v69, 0
	s_branch .LBB17_3
.LBB17_62:
	s_nop 0
	s_sendmsg sendmsg(MSG_DEALLOC_VGPRS)
	s_endpgm
	.section	.rodata,"a",@progbits
	.p2align	6, 0x0
	.amdhsa_kernel _ZN2at6native12_GLOBAL__N_143conv_depthwise3d_cuda_backward_input_kernelIffLi3ELi3ELi3ELi1ELi1ELi1ELi1ELi1ELi1EEEvN5torch10headeronly6detail27GenericPackedTensorAccessorINS5_14TensorAccessorIN3c108ArrayRefIlEEKT_Lm4ENS4_16DefaultPtrTraitsEiEENS_6detail16IndexBoundsCheckILm5EiEESC_Lm5ESD_iEENS6_INS7_ISA_SB_Lm4ESD_iEESH_SB_Lm5ESD_iEESI_iiiiiiiii
		.amdhsa_group_segment_fixed_size 0
		.amdhsa_private_segment_fixed_size 0
		.amdhsa_kernarg_size 440
		.amdhsa_user_sgpr_count 2
		.amdhsa_user_sgpr_dispatch_ptr 0
		.amdhsa_user_sgpr_queue_ptr 0
		.amdhsa_user_sgpr_kernarg_segment_ptr 1
		.amdhsa_user_sgpr_dispatch_id 0
		.amdhsa_user_sgpr_private_segment_size 0
		.amdhsa_wavefront_size32 1
		.amdhsa_uses_dynamic_stack 0
		.amdhsa_enable_private_segment 0
		.amdhsa_system_sgpr_workgroup_id_x 1
		.amdhsa_system_sgpr_workgroup_id_y 0
		.amdhsa_system_sgpr_workgroup_id_z 0
		.amdhsa_system_sgpr_workgroup_info 0
		.amdhsa_system_vgpr_workitem_id 0
		.amdhsa_next_free_vgpr 125
		.amdhsa_next_free_sgpr 73
		.amdhsa_reserve_vcc 1
		.amdhsa_float_round_mode_32 0
		.amdhsa_float_round_mode_16_64 0
		.amdhsa_float_denorm_mode_32 3
		.amdhsa_float_denorm_mode_16_64 3
		.amdhsa_fp16_overflow 0
		.amdhsa_workgroup_processor_mode 1
		.amdhsa_memory_ordered 1
		.amdhsa_forward_progress 1
		.amdhsa_inst_pref_size 37
		.amdhsa_round_robin_scheduling 0
		.amdhsa_exception_fp_ieee_invalid_op 0
		.amdhsa_exception_fp_denorm_src 0
		.amdhsa_exception_fp_ieee_div_zero 0
		.amdhsa_exception_fp_ieee_overflow 0
		.amdhsa_exception_fp_ieee_underflow 0
		.amdhsa_exception_fp_ieee_inexact 0
		.amdhsa_exception_int_div_zero 0
	.end_amdhsa_kernel
	.section	.text._ZN2at6native12_GLOBAL__N_143conv_depthwise3d_cuda_backward_input_kernelIffLi3ELi3ELi3ELi1ELi1ELi1ELi1ELi1ELi1EEEvN5torch10headeronly6detail27GenericPackedTensorAccessorINS5_14TensorAccessorIN3c108ArrayRefIlEEKT_Lm4ENS4_16DefaultPtrTraitsEiEENS_6detail16IndexBoundsCheckILm5EiEESC_Lm5ESD_iEENS6_INS7_ISA_SB_Lm4ESD_iEESH_SB_Lm5ESD_iEESI_iiiiiiiii,"axG",@progbits,_ZN2at6native12_GLOBAL__N_143conv_depthwise3d_cuda_backward_input_kernelIffLi3ELi3ELi3ELi1ELi1ELi1ELi1ELi1ELi1EEEvN5torch10headeronly6detail27GenericPackedTensorAccessorINS5_14TensorAccessorIN3c108ArrayRefIlEEKT_Lm4ENS4_16DefaultPtrTraitsEiEENS_6detail16IndexBoundsCheckILm5EiEESC_Lm5ESD_iEENS6_INS7_ISA_SB_Lm4ESD_iEESH_SB_Lm5ESD_iEESI_iiiiiiiii,comdat
.Lfunc_end17:
	.size	_ZN2at6native12_GLOBAL__N_143conv_depthwise3d_cuda_backward_input_kernelIffLi3ELi3ELi3ELi1ELi1ELi1ELi1ELi1ELi1EEEvN5torch10headeronly6detail27GenericPackedTensorAccessorINS5_14TensorAccessorIN3c108ArrayRefIlEEKT_Lm4ENS4_16DefaultPtrTraitsEiEENS_6detail16IndexBoundsCheckILm5EiEESC_Lm5ESD_iEENS6_INS7_ISA_SB_Lm4ESD_iEESH_SB_Lm5ESD_iEESI_iiiiiiiii, .Lfunc_end17-_ZN2at6native12_GLOBAL__N_143conv_depthwise3d_cuda_backward_input_kernelIffLi3ELi3ELi3ELi1ELi1ELi1ELi1ELi1ELi1EEEvN5torch10headeronly6detail27GenericPackedTensorAccessorINS5_14TensorAccessorIN3c108ArrayRefIlEEKT_Lm4ENS4_16DefaultPtrTraitsEiEENS_6detail16IndexBoundsCheckILm5EiEESC_Lm5ESD_iEENS6_INS7_ISA_SB_Lm4ESD_iEESH_SB_Lm5ESD_iEESI_iiiiiiiii
                                        ; -- End function
	.set _ZN2at6native12_GLOBAL__N_143conv_depthwise3d_cuda_backward_input_kernelIffLi3ELi3ELi3ELi1ELi1ELi1ELi1ELi1ELi1EEEvN5torch10headeronly6detail27GenericPackedTensorAccessorINS5_14TensorAccessorIN3c108ArrayRefIlEEKT_Lm4ENS4_16DefaultPtrTraitsEiEENS_6detail16IndexBoundsCheckILm5EiEESC_Lm5ESD_iEENS6_INS7_ISA_SB_Lm4ESD_iEESH_SB_Lm5ESD_iEESI_iiiiiiiii.num_vgpr, 125
	.set _ZN2at6native12_GLOBAL__N_143conv_depthwise3d_cuda_backward_input_kernelIffLi3ELi3ELi3ELi1ELi1ELi1ELi1ELi1ELi1EEEvN5torch10headeronly6detail27GenericPackedTensorAccessorINS5_14TensorAccessorIN3c108ArrayRefIlEEKT_Lm4ENS4_16DefaultPtrTraitsEiEENS_6detail16IndexBoundsCheckILm5EiEESC_Lm5ESD_iEENS6_INS7_ISA_SB_Lm4ESD_iEESH_SB_Lm5ESD_iEESI_iiiiiiiii.num_agpr, 0
	.set _ZN2at6native12_GLOBAL__N_143conv_depthwise3d_cuda_backward_input_kernelIffLi3ELi3ELi3ELi1ELi1ELi1ELi1ELi1ELi1EEEvN5torch10headeronly6detail27GenericPackedTensorAccessorINS5_14TensorAccessorIN3c108ArrayRefIlEEKT_Lm4ENS4_16DefaultPtrTraitsEiEENS_6detail16IndexBoundsCheckILm5EiEESC_Lm5ESD_iEENS6_INS7_ISA_SB_Lm4ESD_iEESH_SB_Lm5ESD_iEESI_iiiiiiiii.numbered_sgpr, 73
	.set _ZN2at6native12_GLOBAL__N_143conv_depthwise3d_cuda_backward_input_kernelIffLi3ELi3ELi3ELi1ELi1ELi1ELi1ELi1ELi1EEEvN5torch10headeronly6detail27GenericPackedTensorAccessorINS5_14TensorAccessorIN3c108ArrayRefIlEEKT_Lm4ENS4_16DefaultPtrTraitsEiEENS_6detail16IndexBoundsCheckILm5EiEESC_Lm5ESD_iEENS6_INS7_ISA_SB_Lm4ESD_iEESH_SB_Lm5ESD_iEESI_iiiiiiiii.num_named_barrier, 0
	.set _ZN2at6native12_GLOBAL__N_143conv_depthwise3d_cuda_backward_input_kernelIffLi3ELi3ELi3ELi1ELi1ELi1ELi1ELi1ELi1EEEvN5torch10headeronly6detail27GenericPackedTensorAccessorINS5_14TensorAccessorIN3c108ArrayRefIlEEKT_Lm4ENS4_16DefaultPtrTraitsEiEENS_6detail16IndexBoundsCheckILm5EiEESC_Lm5ESD_iEENS6_INS7_ISA_SB_Lm4ESD_iEESH_SB_Lm5ESD_iEESI_iiiiiiiii.private_seg_size, 0
	.set _ZN2at6native12_GLOBAL__N_143conv_depthwise3d_cuda_backward_input_kernelIffLi3ELi3ELi3ELi1ELi1ELi1ELi1ELi1ELi1EEEvN5torch10headeronly6detail27GenericPackedTensorAccessorINS5_14TensorAccessorIN3c108ArrayRefIlEEKT_Lm4ENS4_16DefaultPtrTraitsEiEENS_6detail16IndexBoundsCheckILm5EiEESC_Lm5ESD_iEENS6_INS7_ISA_SB_Lm4ESD_iEESH_SB_Lm5ESD_iEESI_iiiiiiiii.uses_vcc, 1
	.set _ZN2at6native12_GLOBAL__N_143conv_depthwise3d_cuda_backward_input_kernelIffLi3ELi3ELi3ELi1ELi1ELi1ELi1ELi1ELi1EEEvN5torch10headeronly6detail27GenericPackedTensorAccessorINS5_14TensorAccessorIN3c108ArrayRefIlEEKT_Lm4ENS4_16DefaultPtrTraitsEiEENS_6detail16IndexBoundsCheckILm5EiEESC_Lm5ESD_iEENS6_INS7_ISA_SB_Lm4ESD_iEESH_SB_Lm5ESD_iEESI_iiiiiiiii.uses_flat_scratch, 0
	.set _ZN2at6native12_GLOBAL__N_143conv_depthwise3d_cuda_backward_input_kernelIffLi3ELi3ELi3ELi1ELi1ELi1ELi1ELi1ELi1EEEvN5torch10headeronly6detail27GenericPackedTensorAccessorINS5_14TensorAccessorIN3c108ArrayRefIlEEKT_Lm4ENS4_16DefaultPtrTraitsEiEENS_6detail16IndexBoundsCheckILm5EiEESC_Lm5ESD_iEENS6_INS7_ISA_SB_Lm4ESD_iEESH_SB_Lm5ESD_iEESI_iiiiiiiii.has_dyn_sized_stack, 0
	.set _ZN2at6native12_GLOBAL__N_143conv_depthwise3d_cuda_backward_input_kernelIffLi3ELi3ELi3ELi1ELi1ELi1ELi1ELi1ELi1EEEvN5torch10headeronly6detail27GenericPackedTensorAccessorINS5_14TensorAccessorIN3c108ArrayRefIlEEKT_Lm4ENS4_16DefaultPtrTraitsEiEENS_6detail16IndexBoundsCheckILm5EiEESC_Lm5ESD_iEENS6_INS7_ISA_SB_Lm4ESD_iEESH_SB_Lm5ESD_iEESI_iiiiiiiii.has_recursion, 0
	.set _ZN2at6native12_GLOBAL__N_143conv_depthwise3d_cuda_backward_input_kernelIffLi3ELi3ELi3ELi1ELi1ELi1ELi1ELi1ELi1EEEvN5torch10headeronly6detail27GenericPackedTensorAccessorINS5_14TensorAccessorIN3c108ArrayRefIlEEKT_Lm4ENS4_16DefaultPtrTraitsEiEENS_6detail16IndexBoundsCheckILm5EiEESC_Lm5ESD_iEENS6_INS7_ISA_SB_Lm4ESD_iEESH_SB_Lm5ESD_iEESI_iiiiiiiii.has_indirect_call, 0
	.section	.AMDGPU.csdata,"",@progbits
; Kernel info:
; codeLenInByte = 4720
; TotalNumSgprs: 75
; NumVgprs: 125
; ScratchSize: 0
; MemoryBound: 0
; FloatMode: 240
; IeeeMode: 1
; LDSByteSize: 0 bytes/workgroup (compile time only)
; SGPRBlocks: 0
; VGPRBlocks: 15
; NumSGPRsForWavesPerEU: 75
; NumVGPRsForWavesPerEU: 125
; Occupancy: 10
; WaveLimiterHint : 0
; COMPUTE_PGM_RSRC2:SCRATCH_EN: 0
; COMPUTE_PGM_RSRC2:USER_SGPR: 2
; COMPUTE_PGM_RSRC2:TRAP_HANDLER: 0
; COMPUTE_PGM_RSRC2:TGID_X_EN: 1
; COMPUTE_PGM_RSRC2:TGID_Y_EN: 0
; COMPUTE_PGM_RSRC2:TGID_Z_EN: 0
; COMPUTE_PGM_RSRC2:TIDIG_COMP_CNT: 0
	.section	.text._ZN2at6native12_GLOBAL__N_143conv_depthwise3d_cuda_backward_input_kernelIffLi3ELi3ELi3ELi1ELi1ELi1ELin1ELin1ELin1EEEvN5torch10headeronly6detail27GenericPackedTensorAccessorINS5_14TensorAccessorIN3c108ArrayRefIlEEKT_Lm4ENS4_16DefaultPtrTraitsEiEENS_6detail16IndexBoundsCheckILm5EiEESC_Lm5ESD_iEENS6_INS7_ISA_SB_Lm4ESD_iEESH_SB_Lm5ESD_iEESI_iiiiiiiii,"axG",@progbits,_ZN2at6native12_GLOBAL__N_143conv_depthwise3d_cuda_backward_input_kernelIffLi3ELi3ELi3ELi1ELi1ELi1ELin1ELin1ELin1EEEvN5torch10headeronly6detail27GenericPackedTensorAccessorINS5_14TensorAccessorIN3c108ArrayRefIlEEKT_Lm4ENS4_16DefaultPtrTraitsEiEENS_6detail16IndexBoundsCheckILm5EiEESC_Lm5ESD_iEENS6_INS7_ISA_SB_Lm4ESD_iEESH_SB_Lm5ESD_iEESI_iiiiiiiii,comdat
	.globl	_ZN2at6native12_GLOBAL__N_143conv_depthwise3d_cuda_backward_input_kernelIffLi3ELi3ELi3ELi1ELi1ELi1ELin1ELin1ELin1EEEvN5torch10headeronly6detail27GenericPackedTensorAccessorINS5_14TensorAccessorIN3c108ArrayRefIlEEKT_Lm4ENS4_16DefaultPtrTraitsEiEENS_6detail16IndexBoundsCheckILm5EiEESC_Lm5ESD_iEENS6_INS7_ISA_SB_Lm4ESD_iEESH_SB_Lm5ESD_iEESI_iiiiiiiii ; -- Begin function _ZN2at6native12_GLOBAL__N_143conv_depthwise3d_cuda_backward_input_kernelIffLi3ELi3ELi3ELi1ELi1ELi1ELin1ELin1ELin1EEEvN5torch10headeronly6detail27GenericPackedTensorAccessorINS5_14TensorAccessorIN3c108ArrayRefIlEEKT_Lm4ENS4_16DefaultPtrTraitsEiEENS_6detail16IndexBoundsCheckILm5EiEESC_Lm5ESD_iEENS6_INS7_ISA_SB_Lm4ESD_iEESH_SB_Lm5ESD_iEESI_iiiiiiiii
	.p2align	8
	.type	_ZN2at6native12_GLOBAL__N_143conv_depthwise3d_cuda_backward_input_kernelIffLi3ELi3ELi3ELi1ELi1ELi1ELin1ELin1ELin1EEEvN5torch10headeronly6detail27GenericPackedTensorAccessorINS5_14TensorAccessorIN3c108ArrayRefIlEEKT_Lm4ENS4_16DefaultPtrTraitsEiEENS_6detail16IndexBoundsCheckILm5EiEESC_Lm5ESD_iEENS6_INS7_ISA_SB_Lm4ESD_iEESH_SB_Lm5ESD_iEESI_iiiiiiiii,@function
_ZN2at6native12_GLOBAL__N_143conv_depthwise3d_cuda_backward_input_kernelIffLi3ELi3ELi3ELi1ELi1ELi1ELin1ELin1ELin1EEEvN5torch10headeronly6detail27GenericPackedTensorAccessorINS5_14TensorAccessorIN3c108ArrayRefIlEEKT_Lm4ENS4_16DefaultPtrTraitsEiEENS_6detail16IndexBoundsCheckILm5EiEESC_Lm5ESD_iEENS6_INS7_ISA_SB_Lm4ESD_iEESH_SB_Lm5ESD_iEESI_iiiiiiiii: ; @_ZN2at6native12_GLOBAL__N_143conv_depthwise3d_cuda_backward_input_kernelIffLi3ELi3ELi3ELi1ELi1ELi1ELin1ELin1ELin1EEEvN5torch10headeronly6detail27GenericPackedTensorAccessorINS5_14TensorAccessorIN3c108ArrayRefIlEEKT_Lm4ENS4_16DefaultPtrTraitsEiEENS_6detail16IndexBoundsCheckILm5EiEESC_Lm5ESD_iEENS6_INS7_ISA_SB_Lm4ESD_iEESH_SB_Lm5ESD_iEESI_iiiiiiiii
; %bb.0:
	s_clause 0x2
	s_load_b128 s[44:47], s[0:1], 0x38
	s_load_b32 s2, s[0:1], 0xc4
	s_load_b64 s[60:61], s[0:1], 0x48
	v_mov_b32_e32 v1, 0
                                        ; implicit-def: $vgpr125 : SGPR spill to VGPR lane
	s_wait_kmcnt 0x0
	s_abs_i32 s76, s45
	s_and_b32 s2, s2, 0xffff
	s_cvt_f32_u32 s3, s76
	v_mad_co_u64_u32 v[0:1], null, s2, ttmp9, v[0:1]
	s_mul_i32 s4, s61, s44
	s_delay_alu instid0(SALU_CYCLE_1) | instskip(SKIP_4) | instid1(TRANS32_DEP_1)
	v_rcp_iflag_f32_e32 v2, s3
	s_ashr_i32 s5, s4, 31
	v_writelane_b32 v125, s4, 0
	v_cmp_gt_i64_e32 vcc_lo, s[4:5], v[0:1]
	v_writelane_b32 v125, s5, 1
	v_readfirstlane_b32 s3, v2
	s_and_saveexec_b32 s4, vcc_lo
	s_cbranch_execz .LBB18_62
; %bb.1:
	s_clause 0x1
	s_load_b128 s[48:51], s[0:1], 0xc
	s_load_b64 s[66:67], s[0:1], 0x0
	s_mul_f32 s3, s3, 0x4f7ffffe
	s_sub_co_i32 s8, 0, s76
	s_add_nc_u64 s[6:7], s[0:1], 0xb8
	s_mov_b32 s65, 0
	s_wait_alu 0xfffe
	s_cvt_u32_f32 s3, s3
	s_mov_b32 s5, s65
	s_ashr_i32 s9, s45, 31
	s_wait_alu 0xfffe
	s_mul_i32 s4, s8, s3
	v_writelane_b32 v125, s9, 2
	s_wait_alu 0xfffe
	s_mul_hi_u32 s4, s3, s4
	s_wait_alu 0xfffe
	s_add_co_i32 s4, s3, s4
	s_load_b64 s[68:69], s[0:1], 0xa0
	s_load_b32 s3, s[6:7], 0x0
	s_clause 0x5
	s_load_b128 s[52:55], s[0:1], 0x90
	s_load_b32 s10, s[0:1], 0x7c
	s_load_b64 s[70:71], s[0:1], 0x1c
	s_load_b64 s[72:73], s[0:1], 0x30
	;; [unrolled: 1-line block ×3, first 2 shown]
	s_load_b128 s[56:59], s[0:1], 0x50
	s_wait_kmcnt 0x0
	s_abs_i32 s64, s48
	s_delay_alu instid0(SALU_CYCLE_1)
	s_mul_u64 s[4:5], s[64:65], s[4:5]
	s_ashr_i32 s4, s48, 31
	s_wait_alu 0xfffe
	s_mul_i32 s6, s5, s76
	s_xor_b32 s4, s4, s9
	s_sub_co_i32 s6, s64, s6
	s_add_co_i32 s7, s5, 1
	s_sub_co_i32 s9, s6, s76
	s_cmp_ge_u32 s6, s76
	s_cselect_b32 s5, s7, s5
	s_wait_alu 0xfffe
	s_cselect_b32 s6, s9, s6
	s_add_co_i32 s7, s5, 1
	s_cmp_ge_u32 s6, s76
	s_mul_i32 s1, s3, s2
	v_writelane_b32 v125, s10, 3
	s_cselect_b32 s5, s7, s5
	v_readfirstlane_b32 s6, v2
	s_wait_alu 0xfffe
	s_xor_b32 s5, s5, s4
	s_wait_alu 0xfffe
	s_sub_co_i32 s64, s5, s4
	v_writelane_b32 v125, s1, 4
	s_cmp_gt_i32 s64, 0
	s_mul_f32 s0, s6, 0x4f7ffffe
	s_cselect_b32 s1, -1, 0
	s_abs_i32 s81, s60
	s_wait_alu 0xfffe
	v_writelane_b32 v125, s1, 5
	s_ashr_i32 s1, s60, 31
	s_abs_i32 s83, s47
	s_abs_i32 s85, s46
	s_cvt_f32_u32 s2, s83
	s_wait_alu 0xfffe
	v_writelane_b32 v125, s1, 6
	s_ashr_i32 s1, s47, 31
	s_abs_i32 s86, s52
	v_rcp_iflag_f32_e32 v3, s2
	s_cvt_f32_u32 s3, s85
	s_wait_alu 0xfffe
	v_writelane_b32 v125, s1, 7
	s_ashr_i32 s1, s46, 31
	s_sub_co_i32 s2, 0, s81
	v_rcp_iflag_f32_e32 v4, s3
	s_abs_i32 s87, s53
	s_wait_alu 0xfffe
	v_writelane_b32 v125, s1, 8
	s_cvt_f32_u32 s1, s81
	s_sub_co_i32 s3, 0, s83
	v_readfirstlane_b32 s5, v3
	s_abs_i32 s88, s54
	s_wait_alu 0xfffe
	v_rcp_iflag_f32_e32 v2, s1
	s_cvt_f32_u32 s1, s86
	s_cvt_f32_u32 s7, s87
	v_readfirstlane_b32 s6, v4
	s_mul_f32 s5, s5, 0x4f7ffffe
	s_wait_alu 0xfffe
	v_rcp_iflag_f32_e32 v5, s1
	s_cvt_f32_u32 s9, s88
	s_sub_co_i32 s4, 0, s85
	s_cvt_u32_f32 s5, s5
	s_mul_f32 s6, s6, 0x4f7ffffe
	v_readfirstlane_b32 s1, v2
	v_rcp_iflag_f32_e32 v2, s7
	s_wait_alu 0xfffe
	s_mul_i32 s3, s3, s5
	s_cvt_u32_f32 s6, s6
	s_wait_alu 0xfffe
	s_mul_hi_u32 s3, s5, s3
	s_mul_f32 s1, s1, 0x4f7ffffe
	v_readfirstlane_b32 s7, v5
	s_mul_i32 s4, s4, s6
	s_cvt_u32_f32 s0, s0
	s_wait_alu 0xfffe
	s_cvt_u32_f32 s1, s1
	v_rcp_iflag_f32_e32 v3, s9
	s_ashr_i32 s93, s52, 31
	s_mul_i32 s8, s8, s0
	s_wait_alu 0xfffe
	s_mul_i32 s2, s2, s1
	s_ashr_i32 s95, s53, 31
	s_wait_alu 0xfffe
	s_mul_hi_u32 s2, s1, s2
	s_ashr_i32 s97, s54, 31
	s_wait_alu 0xfffe
	s_add_co_i32 s1, s1, s2
	s_mul_f32 s2, s7, 0x4f7ffffe
	s_wait_alu 0xfffe
	v_writelane_b32 v125, s1, 9
	s_add_co_i32 s1, s5, s3
	s_sub_co_i32 s3, 0, s86
	s_cvt_u32_f32 s2, s2
	s_wait_alu 0xfffe
	v_writelane_b32 v125, s1, 10
	s_mul_hi_u32 s1, s6, s4
	v_readfirstlane_b32 s4, v2
	s_wait_alu 0xfffe
	s_add_co_i32 s1, s6, s1
	s_mul_i32 s3, s3, s2
	s_wait_alu 0xfffe
	v_writelane_b32 v125, s1, 11
	s_mul_hi_u32 s1, s0, s8
	s_wait_alu 0xfffe
	s_add_co_i32 s0, s0, s1
	s_mul_hi_u32 s1, s2, s3
	s_wait_alu 0xfffe
	v_writelane_b32 v125, s0, 12
	v_readfirstlane_b32 s0, v3
	s_mul_f32 s3, s4, 0x4f7ffffe
	s_add_co_i32 s94, s2, s1
	s_sub_co_i32 s2, 0, s87
	s_mul_f32 s0, s0, 0x4f7ffffe
	s_wait_alu 0xfffe
	s_cvt_u32_f32 s1, s3
	s_sub_co_i32 s3, 0, s88
	s_cvt_u32_f32 s0, s0
	s_wait_alu 0xfffe
	s_mul_i32 s2, s2, s1
	s_wait_alu 0xfffe
	s_mul_hi_u32 s2, s1, s2
	s_mul_i32 s3, s3, s0
	s_wait_alu 0xfffe
	s_add_co_i32 s96, s1, s2
	s_mul_hi_u32 s1, s0, s3
	s_wait_alu 0xfffe
	s_add_co_i32 s98, s0, s1
	s_branch .LBB18_4
.LBB18_2:                               ;   in Loop: Header=BB18_4 Depth=1
	s_or_b32 exec_lo, exec_lo, s99
.LBB18_3:                               ;   in Loop: Header=BB18_4 Depth=1
	v_mul_lo_u32 v2, v63, s61
	v_mul_lo_u32 v4, s56, v64
	;; [unrolled: 1-line block ×3, first 2 shown]
	v_readlane_b32 s0, v125, 4
	v_mul_lo_u32 v8, s58, v61
	v_mul_lo_u32 v10, s59, v60
	s_wait_alu 0xf1ff
	s_delay_alu instid0(VALU_DEP_3)
	v_add_co_u32 v0, vcc_lo, v0, s0
	v_ashrrev_i32_e32 v3, 31, v2
	v_ashrrev_i32_e32 v5, 31, v4
	;; [unrolled: 1-line block ×3, first 2 shown]
	s_wait_alu 0xfffd
	v_add_co_ci_u32_e64 v1, null, 0, v1, vcc_lo
	v_lshlrev_b64_e32 v[2:3], 2, v[2:3]
	v_lshlrev_b64_e32 v[4:5], 2, v[4:5]
	v_ashrrev_i32_e32 v9, 31, v8
	v_ashrrev_i32_e32 v11, 31, v10
	v_readlane_b32 s0, v125, 0
	v_readlane_b32 s1, v125, 1
	v_add_co_u32 v12, vcc_lo, s72, v2
	s_wait_alu 0xfffd
	v_add_co_ci_u32_e64 v13, null, s73, v3, vcc_lo
	v_lshlrev_b64_e32 v[2:3], 2, v[6:7]
	s_delay_alu instid0(VALU_DEP_3) | instskip(SKIP_1) | instid1(VALU_DEP_3)
	v_add_co_u32 v6, vcc_lo, v12, v4
	s_wait_alu 0xfffd
	v_add_co_ci_u32_e64 v7, null, v13, v5, vcc_lo
	v_lshlrev_b64_e32 v[4:5], 2, v[8:9]
	s_delay_alu instid0(VALU_DEP_3) | instskip(SKIP_1) | instid1(VALU_DEP_3)
	;; [unrolled: 5-line block ×3, first 2 shown]
	v_add_co_u32 v4, vcc_lo, v6, v4
	s_wait_alu 0xfffd
	v_add_co_ci_u32_e64 v5, null, v7, v5, vcc_lo
	s_wait_alu 0xf1ff
	v_cmp_le_i64_e32 vcc_lo, s[0:1], v[0:1]
	v_add_co_u32 v2, s0, v4, v2
	s_wait_alu 0xf1ff
	v_add_co_ci_u32_e64 v3, null, v5, v3, s0
	s_or_b32 s65, vcc_lo, s65
	global_store_b32 v[2:3], v68, off
	s_wait_alu 0xfffe
	s_and_not1_b32 exec_lo, exec_lo, s65
	s_cbranch_execz .LBB18_62
.LBB18_4:                               ; =>This Loop Header: Depth=1
                                        ;     Child Loop BB18_7 Depth 2
	v_sub_nc_u32_e32 v2, 0, v0
	v_readlane_b32 s0, v125, 9
	s_delay_alu instid0(VALU_DEP_2) | instskip(SKIP_1) | instid1(VALU_DEP_1)
	v_max_i32_e32 v2, v0, v2
	s_wait_alu 0xf1ff
	v_mul_hi_u32 v3, v2, s0
	v_readlane_b32 s0, v125, 6
	s_delay_alu instid0(VALU_DEP_2) | instskip(NEXT) | instid1(VALU_DEP_1)
	v_mul_lo_u32 v4, v3, s81
	v_sub_nc_u32_e32 v2, v2, v4
	v_add_nc_u32_e32 v4, 1, v3
	s_delay_alu instid0(VALU_DEP_2) | instskip(SKIP_2) | instid1(VALU_DEP_2)
	v_subrev_nc_u32_e32 v5, s81, v2
	v_cmp_le_u32_e32 vcc_lo, s81, v2
	s_wait_alu 0xfffd
	v_dual_cndmask_b32 v3, v3, v4 :: v_dual_cndmask_b32 v2, v2, v5
	v_ashrrev_i32_e32 v4, 31, v0
	s_delay_alu instid0(VALU_DEP_2) | instskip(NEXT) | instid1(VALU_DEP_3)
	v_add_nc_u32_e32 v5, 1, v3
	v_cmp_le_u32_e32 vcc_lo, s81, v2
	s_wait_alu 0xf1ff
	s_delay_alu instid0(VALU_DEP_3) | instskip(SKIP_3) | instid1(VALU_DEP_1)
	v_xor_b32_e32 v4, s0, v4
	v_readlane_b32 s0, v125, 10
	s_wait_alu 0xfffd
	v_cndmask_b32_e32 v2, v3, v5, vcc_lo
	v_xor_b32_e32 v2, v2, v4
	s_delay_alu instid0(VALU_DEP_1) | instskip(NEXT) | instid1(VALU_DEP_1)
	v_sub_nc_u32_e32 v2, v2, v4
	v_sub_nc_u32_e32 v3, 0, v2
	s_delay_alu instid0(VALU_DEP_1) | instskip(SKIP_1) | instid1(VALU_DEP_1)
	v_max_i32_e32 v3, v2, v3
	s_wait_alu 0xf1ff
	v_mul_hi_u32 v4, v3, s0
	v_readlane_b32 s0, v125, 7
	s_delay_alu instid0(VALU_DEP_2) | instskip(NEXT) | instid1(VALU_DEP_1)
	v_mul_lo_u32 v5, v4, s83
	v_sub_nc_u32_e32 v3, v3, v5
	v_add_nc_u32_e32 v5, 1, v4
	s_delay_alu instid0(VALU_DEP_2) | instskip(SKIP_2) | instid1(VALU_DEP_2)
	v_subrev_nc_u32_e32 v6, s83, v3
	v_cmp_le_u32_e32 vcc_lo, s83, v3
	s_wait_alu 0xfffd
	v_dual_cndmask_b32 v4, v4, v5 :: v_dual_cndmask_b32 v3, v3, v6
	v_ashrrev_i32_e32 v5, 31, v2
	s_delay_alu instid0(VALU_DEP_2) | instskip(NEXT) | instid1(VALU_DEP_3)
	v_add_nc_u32_e32 v6, 1, v4
	v_cmp_le_u32_e32 vcc_lo, s83, v3
	s_wait_alu 0xf1ff
	s_delay_alu instid0(VALU_DEP_3) | instskip(SKIP_3) | instid1(VALU_DEP_1)
	v_xor_b32_e32 v5, s0, v5
	v_readlane_b32 s0, v125, 11
	s_wait_alu 0xfffd
	v_cndmask_b32_e32 v3, v4, v6, vcc_lo
	v_xor_b32_e32 v3, v3, v5
	s_delay_alu instid0(VALU_DEP_1) | instskip(NEXT) | instid1(VALU_DEP_1)
	v_sub_nc_u32_e32 v3, v3, v5
	v_sub_nc_u32_e32 v4, 0, v3
	s_delay_alu instid0(VALU_DEP_1) | instskip(SKIP_1) | instid1(VALU_DEP_1)
	;; [unrolled: 28-line block ×3, first 2 shown]
	v_max_i32_e32 v5, v4, v5
	s_wait_alu 0xf1ff
	v_mul_hi_u32 v6, v5, s0
	v_readlane_b32 s0, v125, 2
	s_delay_alu instid0(VALU_DEP_2) | instskip(NEXT) | instid1(VALU_DEP_1)
	v_mul_lo_u32 v7, v6, s76
	v_sub_nc_u32_e32 v5, v5, v7
	v_add_nc_u32_e32 v7, 1, v6
	s_delay_alu instid0(VALU_DEP_2) | instskip(SKIP_2) | instid1(VALU_DEP_2)
	v_subrev_nc_u32_e32 v8, s76, v5
	v_cmp_le_u32_e32 vcc_lo, s76, v5
	s_wait_alu 0xfffd
	v_dual_cndmask_b32 v6, v6, v7 :: v_dual_cndmask_b32 v5, v5, v8
	v_ashrrev_i32_e32 v7, 31, v4
	s_delay_alu instid0(VALU_DEP_2) | instskip(NEXT) | instid1(VALU_DEP_3)
	v_add_nc_u32_e32 v8, 1, v6
	v_cmp_le_u32_e32 vcc_lo, s76, v5
	s_wait_alu 0xf1ff
	s_delay_alu instid0(VALU_DEP_3)
	v_xor_b32_e32 v7, s0, v7
	v_readlane_b32 s0, v125, 5
	s_wait_alu 0xfffd
	v_cndmask_b32_e32 v5, v6, v8, vcc_lo
	v_mul_lo_u32 v6, v3, s47
	s_and_not1_b32 vcc_lo, exec_lo, s0
	s_delay_alu instid0(VALU_DEP_2) | instskip(NEXT) | instid1(VALU_DEP_2)
	v_xor_b32_e32 v5, v5, v7
	v_sub_nc_u32_e32 v61, v2, v6
	s_delay_alu instid0(VALU_DEP_2) | instskip(SKIP_2) | instid1(VALU_DEP_3)
	v_sub_nc_u32_e32 v63, v5, v7
	v_mul_lo_u32 v5, v2, s60
	v_mul_lo_u32 v7, v4, s46
	;; [unrolled: 1-line block ×3, first 2 shown]
	s_delay_alu instid0(VALU_DEP_3) | instskip(NEXT) | instid1(VALU_DEP_3)
	v_sub_nc_u32_e32 v60, v0, v5
	v_sub_nc_u32_e32 v62, v3, v7
	s_delay_alu instid0(VALU_DEP_3)
	v_sub_nc_u32_e32 v64, v4, v8
	s_wait_alu 0xfffe
	s_cbranch_vccnz .LBB18_61
; %bb.5:                                ;   in Loop: Header=BB18_4 Depth=1
	v_add_nc_u32_e32 v6, s69, v60
	v_add_nc_u32_e32 v15, s68, v61
	v_mul_lo_u32 v65, v64, s64
	v_readlane_b32 s0, v125, 3
	s_mov_b32 s99, 0
	v_sub_nc_u32_e32 v2, 0, v6
	v_sub_nc_u32_e32 v3, 1, v6
	s_delay_alu instid0(VALU_DEP_2) | instskip(NEXT) | instid1(VALU_DEP_1)
	v_max_i32_e32 v2, v6, v2
	v_mul_hi_u32 v4, v2, s98
	s_delay_alu instid0(VALU_DEP_1) | instskip(NEXT) | instid1(VALU_DEP_1)
	v_mul_lo_u32 v8, v4, s88
	v_sub_nc_u32_e32 v8, v2, v8
	s_wait_alu 0xf1ff
	v_mul_lo_u32 v2, s0, v65
	s_delay_alu instid0(VALU_DEP_2) | instskip(SKIP_2) | instid1(VALU_DEP_1)
	v_cmp_le_u32_e32 vcc_lo, s88, v8
	v_add_nc_u32_e32 v13, 1, v4
	s_wait_alu 0xfffd
	v_dual_cndmask_b32 v4, v4, v13 :: v_dual_add_nc_u32 v7, -1, v6
	s_delay_alu instid0(VALU_DEP_1) | instskip(SKIP_1) | instid1(VALU_DEP_2)
	v_max_i32_e32 v3, v7, v3
	v_ashrrev_i32_e32 v14, 31, v7
	v_mul_hi_u32 v5, v3, s98
	s_delay_alu instid0(VALU_DEP_1) | instskip(NEXT) | instid1(VALU_DEP_1)
	v_mul_lo_u32 v9, v5, s88
	v_sub_nc_u32_e32 v3, v3, v9
	v_subrev_nc_u32_e32 v9, s88, v8
	s_delay_alu instid0(VALU_DEP_2) | instskip(NEXT) | instid1(VALU_DEP_2)
	v_subrev_nc_u32_e32 v13, s88, v3
	v_cndmask_b32_e32 v8, v8, v9, vcc_lo
	v_add_nc_u32_e32 v9, 1, v5
	v_cmp_le_u32_e32 vcc_lo, s88, v3
	s_wait_alu 0xfffd
	v_cndmask_b32_e32 v13, v3, v13, vcc_lo
	v_sub_nc_u32_e32 v12, 2, v6
	v_add_nc_u32_e32 v3, 1, v4
	v_cndmask_b32_e32 v5, v5, v9, vcc_lo
	v_cmp_le_u32_e32 vcc_lo, s88, v8
	v_add_nc_u32_e32 v11, -2, v6
	v_ashrrev_i32_e32 v10, 31, v6
	v_xor_b32_e32 v8, s97, v14
	v_add_nc_u32_e32 v14, 1, v5
	s_wait_alu 0xfffd
	v_cndmask_b32_e32 v4, v4, v3, vcc_lo
	v_max_i32_e32 v12, v11, v12
	v_xor_b32_e32 v10, s97, v10
	v_cmp_le_u32_e32 vcc_lo, s88, v13
	v_ashrrev_i32_e32 v3, 31, v2
	s_delay_alu instid0(VALU_DEP_4) | instskip(NEXT) | instid1(VALU_DEP_4)
	v_mul_hi_u32 v9, v12, s98
	v_xor_b32_e32 v4, v4, v10
	s_wait_alu 0xfffd
	v_cndmask_b32_e32 v5, v5, v14, vcc_lo
	v_lshlrev_b64_e32 v[2:3], 2, v[2:3]
	v_add_nc_u32_e32 v14, -1, v15
	v_sub_nc_u32_e32 v4, v4, v10
	s_delay_alu instid0(VALU_DEP_4) | instskip(SKIP_2) | instid1(VALU_DEP_4)
	v_xor_b32_e32 v5, v5, v8
	v_mul_lo_u32 v13, v9, s88
	v_add_co_u32 v2, vcc_lo, s74, v2
	v_mul_lo_u32 v10, v4, s54
	s_delay_alu instid0(VALU_DEP_4)
	v_sub_nc_u32_e32 v5, v5, v8
	v_sub_nc_u32_e32 v8, 1, v15
	s_wait_alu 0xfffd
	v_add_co_ci_u32_e64 v3, null, s75, v3, vcc_lo
	v_sub_nc_u32_e32 v12, v12, v13
	v_add_nc_u32_e32 v13, 1, v9
	v_max_i32_e32 v8, v14, v8
	v_cmp_eq_u32_e64 s0, v10, v6
	v_mul_lo_u32 v10, v5, s54
	v_cmp_le_u32_e32 vcc_lo, s88, v12
	v_subrev_nc_u32_e32 v6, s88, v12
	v_cmp_gt_i32_e64 s42, s51, v4
	v_cmp_gt_i32_e64 s43, s51, v5
	s_wait_alu 0xfffd
	v_cndmask_b32_e32 v9, v9, v13, vcc_lo
	v_mul_hi_u32 v13, v8, s96
	v_cndmask_b32_e32 v6, v12, v6, vcc_lo
	v_sub_nc_u32_e32 v12, 0, v15
	v_cmp_eq_u32_e32 vcc_lo, v10, v7
	v_ashrrev_i32_e32 v7, 31, v11
	v_add_nc_u32_e32 v10, 1, v9
	v_cmp_le_u32_e64 s1, s88, v6
	v_max_i32_e32 v12, v15, v12
	v_mul_lo_u32 v6, v13, s87
	v_xor_b32_e32 v7, s97, v7
	s_wait_alu 0xf1ff
	v_cndmask_b32_e64 v9, v9, v10, s1
	v_mul_hi_u32 v10, v12, s96
	s_delay_alu instid0(VALU_DEP_2) | instskip(SKIP_1) | instid1(VALU_DEP_2)
	v_xor_b32_e32 v9, v9, v7
	v_sub_nc_u32_e32 v8, v8, v6
	v_sub_nc_u32_e32 v6, v9, v7
	s_delay_alu instid0(VALU_DEP_4) | instskip(NEXT) | instid1(VALU_DEP_3)
	v_mul_lo_u32 v7, v10, s87
	v_subrev_nc_u32_e32 v9, s87, v8
	v_cmp_le_u32_e64 s1, s87, v8
	s_delay_alu instid0(VALU_DEP_4) | instskip(SKIP_1) | instid1(VALU_DEP_2)
	v_cmp_gt_i32_e64 s44, s51, v6
	s_wait_alu 0xf1ff
	v_cndmask_b32_e64 v8, v8, v9, s1
	v_mul_lo_u32 v9, v6, s54
	v_sub_nc_u32_e32 v7, v12, v7
	v_add_nc_u32_e32 v12, 1, v13
	s_delay_alu instid0(VALU_DEP_4) | instskip(SKIP_1) | instid1(VALU_DEP_4)
	v_cmp_le_u32_e64 s3, s87, v8
	v_ashrrev_i32_e32 v8, 31, v14
	v_cmp_le_u32_e64 s2, s87, v7
	s_delay_alu instid0(VALU_DEP_4)
	v_cndmask_b32_e64 v12, v13, v12, s1
	v_cmp_eq_u32_e64 s1, v9, v11
	v_subrev_nc_u32_e32 v9, s87, v7
	v_add_nc_u32_e32 v11, 1, v10
	v_xor_b32_e32 v8, s95, v8
	v_add_nc_u32_e32 v13, 1, v12
	s_wait_alu 0xf1ff
	v_cndmask_b32_e64 v7, v7, v9, s2
	v_cndmask_b32_e64 v9, v10, v11, s2
	v_add_nc_u32_e32 v10, -2, v15
	v_sub_nc_u32_e32 v11, 2, v15
	v_cndmask_b32_e64 v12, v12, v13, s3
	v_cmp_le_u32_e64 s2, s87, v7
	v_add_nc_u32_e32 v13, 1, v9
	v_ashrrev_i32_e32 v7, 31, v15
	v_max_i32_e32 v11, v10, v11
	v_xor_b32_e32 v12, v12, v8
	s_wait_alu 0xf1ff
	v_cndmask_b32_e64 v9, v9, v13, s2
	v_xor_b32_e32 v16, s95, v7
	v_mul_hi_u32 v13, v11, s96
	v_sub_nc_u32_e32 v7, v12, v8
	s_delay_alu instid0(VALU_DEP_3) | instskip(NEXT) | instid1(VALU_DEP_2)
	v_xor_b32_e32 v8, v9, v16
	v_mul_lo_u32 v12, v7, s53
	v_cmp_gt_i32_e64 s35, s50, v7
	v_mul_lo_u32 v9, v13, s87
	s_delay_alu instid0(VALU_DEP_4) | instskip(SKIP_4) | instid1(VALU_DEP_4)
	v_sub_nc_u32_e32 v8, v8, v16
	s_and_b32 s84, s42, s35
	s_and_b32 s89, s43, s35
	v_cmp_eq_u32_e64 s15, v12, v14
	v_add_nc_u32_e32 v14, s55, v62
	v_sub_nc_u32_e32 v9, v11, v9
	v_mul_lo_u32 v11, v8, s53
	v_cmp_gt_i32_e64 s34, s50, v8
	s_and_b32 s90, s44, s35
	v_subrev_nc_u32_e32 v12, s87, v9
	v_cmp_le_u32_e64 s2, s87, v9
	s_and_b32 s79, s42, s34
	s_and_b32 s80, s43, s34
	v_cmp_eq_u32_e64 s21, v11, v15
	v_add_nc_u32_e32 v11, 1, v13
	s_wait_alu 0xf1ff
	v_cndmask_b32_e64 v9, v9, v12, s2
	v_add_nc_u32_e32 v12, -1, v14
	v_sub_nc_u32_e32 v15, 1, v14
	s_and_b32 s82, s44, s34
	v_cndmask_b32_e64 v11, v13, v11, s2
	v_cmp_le_u32_e64 s2, s87, v9
	s_delay_alu instid0(VALU_DEP_3) | instskip(NEXT) | instid1(VALU_DEP_3)
	v_max_i32_e32 v13, v12, v15
	v_add_nc_u32_e32 v15, 1, v11
	s_delay_alu instid0(VALU_DEP_2) | instskip(SKIP_1) | instid1(VALU_DEP_2)
	v_mul_hi_u32 v16, v13, s94
	s_wait_alu 0xf1ff
	v_cndmask_b32_e64 v9, v11, v15, s2
	s_delay_alu instid0(VALU_DEP_2) | instskip(NEXT) | instid1(VALU_DEP_1)
	v_mul_lo_u32 v11, v16, s86
	v_sub_nc_u32_e32 v11, v13, v11
	v_ashrrev_i32_e32 v13, 31, v10
	s_delay_alu instid0(VALU_DEP_2) | instskip(NEXT) | instid1(VALU_DEP_2)
	v_cmp_le_u32_e64 s2, s86, v11
	v_xor_b32_e32 v13, s95, v13
	s_delay_alu instid0(VALU_DEP_1) | instskip(NEXT) | instid1(VALU_DEP_1)
	v_xor_b32_e32 v9, v9, v13
	v_sub_nc_u32_e32 v9, v9, v13
	v_subrev_nc_u32_e32 v13, s86, v11
	s_delay_alu instid0(VALU_DEP_2) | instskip(SKIP_1) | instid1(VALU_DEP_2)
	v_mul_lo_u32 v15, v9, s53
	s_wait_alu 0xf1ff
	v_cndmask_b32_e64 v11, v11, v13, s2
	v_add_nc_u32_e32 v13, 1, v16
	v_cmp_gt_i32_e64 s37, s50, v9
	s_delay_alu instid0(VALU_DEP_2)
	v_cndmask_b32_e64 v13, v16, v13, s2
	v_cmp_eq_u32_e64 s26, v15, v10
	v_sub_nc_u32_e32 v15, 0, v14
	v_cmp_le_u32_e64 s2, s86, v11
	v_ashrrev_i32_e32 v11, 31, v12
	v_add_nc_u32_e32 v10, 1, v13
	s_and_b32 s91, s42, s37
	v_max_i32_e32 v15, v14, v15
	s_and_b32 s92, s43, s37
	v_xor_b32_e32 v11, s93, v11
	s_wait_alu 0xf1ff
	v_cndmask_b32_e64 v10, v13, v10, s2
	s_and_b32 s62, s44, s37
	v_mul_hi_u32 v13, v15, s94
	s_delay_alu instid0(VALU_DEP_2) | instskip(NEXT) | instid1(VALU_DEP_1)
	v_xor_b32_e32 v10, v10, v11
	v_sub_nc_u32_e32 v16, v10, v11
	s_delay_alu instid0(VALU_DEP_3) | instskip(NEXT) | instid1(VALU_DEP_2)
	v_mul_lo_u32 v10, v13, s86
	v_mul_lo_u32 v11, v16, s52
	v_cmp_gt_i32_e64 s36, s49, v16
	s_delay_alu instid0(VALU_DEP_3) | instskip(NEXT) | instid1(VALU_DEP_3)
	v_sub_nc_u32_e32 v10, v15, v10
	v_cmp_eq_u32_e64 s18, v11, v12
	s_delay_alu instid0(VALU_DEP_2)
	v_subrev_nc_u32_e32 v11, s86, v10
	v_add_nc_u32_e32 v12, 1, v13
	v_cmp_le_u32_e64 s2, s86, v10
	s_and_b32 s63, s18, s15
	v_cndmask_b32_e64 v10, v10, v11, s2
	v_cndmask_b32_e64 v11, v13, v12, s2
	v_add_nc_u32_e32 v12, -2, v14
	v_sub_nc_u32_e32 v13, 2, v14
	s_delay_alu instid0(VALU_DEP_4) | instskip(NEXT) | instid1(VALU_DEP_2)
	v_cmp_le_u32_e64 s2, s86, v10
	v_max_i32_e32 v13, v12, v13
	s_delay_alu instid0(VALU_DEP_1) | instskip(NEXT) | instid1(VALU_DEP_1)
	v_mul_hi_u32 v15, v13, s94
	v_mul_lo_u32 v17, v15, s86
	s_delay_alu instid0(VALU_DEP_1) | instskip(SKIP_2) | instid1(VALU_DEP_1)
	v_sub_nc_u32_e32 v13, v13, v17
	v_add_nc_u32_e32 v17, 1, v11
	s_wait_alu 0xf1ff
	v_cndmask_b32_e64 v10, v11, v17, s2
	s_delay_alu instid0(VALU_DEP_3) | instskip(SKIP_2) | instid1(VALU_DEP_1)
	v_subrev_nc_u32_e32 v11, s86, v13
	v_cmp_le_u32_e64 s2, s86, v13
	s_wait_alu 0xf1ff
	v_cndmask_b32_e64 v11, v13, v11, s2
	v_add_nc_u32_e32 v13, 1, v15
	s_delay_alu instid0(VALU_DEP_1) | instskip(SKIP_1) | instid1(VALU_DEP_4)
	v_cndmask_b32_e64 v13, v15, v13, s2
	v_ashrrev_i32_e32 v15, 31, v14
	v_cmp_le_u32_e64 s2, s86, v11
	v_ashrrev_i32_e32 v11, 31, v12
	s_delay_alu instid0(VALU_DEP_3) | instskip(NEXT) | instid1(VALU_DEP_2)
	v_xor_b32_e32 v15, s93, v15
	v_xor_b32_e32 v11, s93, v11
	s_delay_alu instid0(VALU_DEP_2) | instskip(NEXT) | instid1(VALU_DEP_1)
	v_xor_b32_e32 v10, v10, v15
	v_sub_nc_u32_e32 v15, v10, v15
	v_add_nc_u32_e32 v10, 1, v13
	s_delay_alu instid0(VALU_DEP_2) | instskip(SKIP_1) | instid1(VALU_DEP_2)
	v_cmp_gt_i32_e64 s33, s49, v15
	s_wait_alu 0xf1ff
	v_cndmask_b32_e64 v10, v13, v10, s2
	s_delay_alu instid0(VALU_DEP_1) | instskip(NEXT) | instid1(VALU_DEP_1)
	v_xor_b32_e32 v10, v10, v11
	v_sub_nc_u32_e32 v13, v10, v11
	v_mul_lo_u32 v10, v15, s52
	s_delay_alu instid0(VALU_DEP_2) | instskip(NEXT) | instid1(VALU_DEP_2)
	v_cmp_gt_i32_e64 s28, s49, v13
	v_cmp_eq_u32_e64 s8, v10, v14
	v_mul_lo_u32 v10, v13, s52
	s_and_b32 s48, s8, s21
	s_delay_alu instid0(VALU_DEP_1) | instskip(SKIP_1) | instid1(VALU_DEP_1)
	v_cmp_eq_u32_e64 s27, v10, v12
	v_mul_lo_u32 v10, s70, v63
	v_ashrrev_i32_e32 v11, 31, v10
	s_delay_alu instid0(VALU_DEP_1) | instskip(NEXT) | instid1(VALU_DEP_1)
	v_lshlrev_b64_e32 v[10:11], 2, v[10:11]
	v_add_co_u32 v66, s2, s66, v10
	v_or_b32_e32 v10, v4, v8
	s_wait_alu 0xf1ff
	s_delay_alu instid0(VALU_DEP_3) | instskip(NEXT) | instid1(VALU_DEP_2)
	v_add_co_ci_u32_e64 v67, null, s67, v11, s2
	v_or_b32_e32 v11, v10, v15
	s_delay_alu instid0(VALU_DEP_1) | instskip(SKIP_2) | instid1(VALU_DEP_1)
	v_cmp_lt_i32_e64 s2, -1, v11
	v_or_b32_e32 v11, v5, v8
	s_and_b32 s2, s79, s2
	v_or_b32_e32 v12, v11, v15
	s_wait_alu 0xfffe
	s_and_b32 s100, s2, s33
	s_and_b32 s2, s48, s0
	s_delay_alu instid0(VALU_DEP_1) | instskip(SKIP_2) | instid1(VALU_DEP_1)
	v_cmp_lt_i32_e64 s3, -1, v12
	v_or_b32_e32 v12, v6, v8
	s_and_b32 s3, s80, s3
	v_or_b32_e32 v14, v12, v15
	s_wait_alu 0xfffe
	s_and_b32 s101, s3, s33
	s_and_b32 s3, s48, vcc_lo
	s_delay_alu instid0(VALU_DEP_1) | instskip(SKIP_2) | instid1(VALU_DEP_1)
	v_cmp_lt_i32_e64 s4, -1, v14
	v_or_b32_e32 v14, v4, v7
	s_and_b32 s4, s82, s4
	v_or_b32_e32 v17, v14, v15
	s_wait_alu 0xfffe
	s_and_b32 s34, s4, s33
	s_and_b32 s4, s48, s1
	;; [unrolled: 1-line block ×3, first 2 shown]
	v_cmp_lt_i32_e64 s5, -1, v17
	v_or_b32_e32 v17, v5, v7
	s_and_b32 s5, s84, s5
	s_delay_alu instid0(VALU_DEP_1) | instskip(SKIP_3) | instid1(VALU_DEP_1)
	v_or_b32_e32 v18, v17, v15
	s_wait_alu 0xfffe
	s_and_b32 s102, s5, s33
	s_and_b32 s5, s48, s0
	v_cmp_lt_i32_e64 s6, -1, v18
	v_or_b32_e32 v18, v6, v7
	s_and_b32 s6, s89, s6
	s_delay_alu instid0(VALU_DEP_1) | instskip(SKIP_3) | instid1(VALU_DEP_1)
	v_or_b32_e32 v19, v18, v15
	s_wait_alu 0xfffe
	s_and_b32 s103, s6, s33
	s_and_b32 s6, s48, vcc_lo
	v_cmp_lt_i32_e64 s7, -1, v19
	v_or_b32_e32 v19, v4, v9
	s_and_b32 s7, s90, s7
	s_delay_alu instid0(VALU_DEP_1)
	v_or_b32_e32 v20, v19, v15
	s_wait_alu 0xfffe
	s_and_b32 s35, s7, s33
	s_and_b32 s7, s48, s1
	;; [unrolled: 1-line block ×3, first 2 shown]
	v_cmp_lt_i32_e64 s9, -1, v20
	v_or_b32_e32 v20, v5, v9
	s_wait_alu 0xfffe
	s_and_b32 s8, s48, s0
	s_and_b32 s9, s91, s9
	s_delay_alu instid0(VALU_DEP_1) | instskip(SKIP_2) | instid1(VALU_DEP_1)
	v_or_b32_e32 v21, v20, v15
	s_wait_alu 0xfffe
	s_and_b32 s42, s9, s33
	v_cmp_lt_i32_e64 s10, -1, v21
	v_or_b32_e32 v21, v6, v9
	s_and_b32 s9, s92, s10
	s_delay_alu instid0(VALU_DEP_1) | instskip(SKIP_3) | instid1(VALU_DEP_1)
	v_or_b32_e32 v22, v21, v15
	s_wait_alu 0xfffe
	s_and_b32 s43, s9, s33
	s_and_b32 s9, s48, vcc_lo
	v_cmp_lt_i32_e64 s30, -1, v22
	v_or_b32_e32 v22, v10, v16
	v_or_b32_e32 v10, v10, v13
	s_and_b32 s10, s62, s30
	s_delay_alu instid0(VALU_DEP_2) | instskip(SKIP_1) | instid1(VALU_DEP_3)
	v_cmp_lt_i32_e64 s13, -1, v22
	v_or_b32_e32 v22, v11, v16
	v_cmp_lt_i32_e64 s22, -1, v10
	v_or_b32_e32 v10, v11, v13
	v_or_b32_e32 v11, v18, v13
	s_and_b32 s13, s79, s13
	v_cmp_lt_i32_e64 s11, -1, v22
	v_or_b32_e32 v22, v12, v16
	v_cmp_lt_i32_e64 s23, -1, v10
	v_or_b32_e32 v10, v12, v13
	v_or_b32_e32 v12, v19, v13
	v_cmp_lt_i32_e64 s38, -1, v11
	v_cmp_lt_i32_e64 s12, -1, v22
	v_or_b32_e32 v22, v14, v16
	v_cmp_lt_i32_e64 s25, -1, v10
	v_or_b32_e32 v10, v14, v13
	v_or_b32_e32 v14, v20, v13
	s_and_b32 s22, s79, s22
	v_cmp_lt_i32_e64 s17, -1, v22
	v_or_b32_e32 v22, v17, v16
	v_cmp_lt_i32_e64 s29, -1, v10
	v_or_b32_e32 v10, v17, v13
	s_wait_alu 0xfffe
	s_and_b32 s30, s10, s33
	s_and_b32 s17, s84, s17
	v_cmp_lt_i32_e64 s14, -1, v22
	v_or_b32_e32 v22, v18, v16
	v_cmp_lt_i32_e64 s31, -1, v10
	v_mul_lo_u32 v10, v15, s50
	v_mul_lo_u32 v15, v16, s50
	s_and_b32 s33, s13, s36
	v_cmp_lt_i32_e64 s16, -1, v22
	v_or_b32_e32 v22, v19, v16
	s_and_b32 s13, s80, s11
	s_wait_alu 0xfffe
	s_and_b32 s104, s17, s36
	s_and_b32 s17, s89, s14
	v_add_nc_u32_e32 v17, v8, v10
	v_cmp_lt_i32_e64 s24, -1, v22
	v_or_b32_e32 v22, v20, v16
	v_add_nc_u32_e32 v18, v7, v10
	v_add_nc_u32_e32 v19, v9, v10
	;; [unrolled: 1-line block ×4, first 2 shown]
	v_cmp_lt_i32_e64 s20, -1, v22
	v_or_b32_e32 v22, v21, v16
	v_or_b32_e32 v16, v21, v13
	v_mul_lo_u32 v13, v13, s50
	v_add_nc_u32_e32 v35, v9, v15
	v_mul_lo_u32 v11, v17, s51
	v_mul_lo_u32 v17, v18, s51
	;; [unrolled: 1-line block ×6, first 2 shown]
	v_add_nc_u32_e32 v41, v8, v13
	v_add_nc_u32_e32 v47, v7, v13
	;; [unrolled: 1-line block ×5, first 2 shown]
	v_mul_lo_u32 v48, v41, s51
	v_mul_lo_u32 v54, v47, s51
	;; [unrolled: 1-line block ×3, first 2 shown]
	v_add_nc_u32_e32 v11, v6, v11
	v_add_nc_u32_e32 v13, v4, v17
	;; [unrolled: 1-line block ×13, first 2 shown]
	s_and_b32 s24, s91, s24
	v_add_nc_u32_e32 v37, v4, v42
	v_add_nc_u32_e32 v39, v5, v42
	;; [unrolled: 1-line block ×11, first 2 shown]
	v_cmp_lt_i32_e64 s19, -1, v22
	s_wait_alu 0xfffe
	s_and_b32 s77, s24, s36
	s_and_b32 s24, s27, s21
	;; [unrolled: 1-line block ×5, first 2 shown]
	v_add_nc_u32_e32 v68, v6, v58
	s_and_b32 s10, s48, s1
	s_and_b32 s48, s18, s21
	;; [unrolled: 1-line block ×4, first 2 shown]
	s_and_b32 vcc_hi, s17, s36
	s_and_b32 s17, s90, s16
	s_and_b32 s20, s92, s20
	s_wait_alu 0xfffe
	s_and_b32 s21, s24, s0
	s_and_b32 s80, s22, s28
	s_and_b32 s22, s24, vcc_lo
	s_and_b32 s82, s23, s28
	s_and_b32 s23, s24, s1
	;; [unrolled: 1-line block ×3, first 2 shown]
	v_cmp_lt_i32_e64 s39, -1, v12
	v_cmp_lt_i32_e64 s40, -1, v14
	;; [unrolled: 1-line block ×3, first 2 shown]
	v_ashrrev_i32_e32 v8, 31, v7
	v_ashrrev_i32_e32 v10, 31, v9
	;; [unrolled: 1-line block ×26, first 2 shown]
	s_and_b32 s11, s48, s0
	s_and_b32 s12, s48, vcc_lo
	s_and_b32 s44, s13, s36
	s_and_b32 s13, s48, s1
	;; [unrolled: 1-line block ×3, first 2 shown]
	s_and_b32 s16, s63, vcc_lo
	s_and_b32 s48, s17, s36
	s_and_b32 s17, s63, s1
	;; [unrolled: 1-line block ×6, first 2 shown]
	s_wait_alu 0xfffe
	s_and_b32 s29, s24, s28
	s_and_b32 s24, s89, s31
	;; [unrolled: 1-line block ×3, first 2 shown]
	v_ashrrev_i32_e32 v69, 31, v68
	s_and_b32 s18, s63, s0
	s_and_b32 s19, s63, vcc_lo
	s_and_b32 s36, s20, s36
	s_and_b32 s20, s63, s1
	;; [unrolled: 1-line block ×3, first 2 shown]
	s_wait_alu 0xfffe
	s_and_b32 s31, s24, s28
	s_and_b32 s24, s25, vcc_lo
	s_and_b32 s25, s25, s1
	s_and_b32 s0, s26, s0
	s_and_b32 vcc_lo, s26, vcc_lo
	s_and_b32 s1, s26, s1
	s_mul_i32 s26, s71, s64
	v_lshlrev_b64_e32 v[4:5], 2, v[7:8]
	v_lshlrev_b64_e32 v[6:7], 2, v[9:10]
	;; [unrolled: 1-line block ×26, first 2 shown]
	s_wait_alu 0xfffe
	v_mul_lo_u32 v58, s26, v64
	s_and_b32 s27, s92, s40
	v_lshlrev_b64_e32 v[56:57], 2, v[68:69]
	v_dual_mov_b32 v68, 0 :: v_dual_add_nc_u32 v69, s64, v65
	s_and_b32 s38, s90, s38
	s_and_b32 s39, s91, s39
	s_wait_alu 0xfffe
	s_and_b32 s40, s27, s28
	s_and_b32 s27, s62, s41
	;; [unrolled: 1-line block ×4, first 2 shown]
	s_wait_alu 0xfffe
	s_and_b32 s28, s27, s28
	s_branch .LBB18_7
.LBB18_6:                               ;   in Loop: Header=BB18_7 Depth=2
	s_wait_alu 0xfffe
	s_or_b32 exec_lo, exec_lo, s27
	s_wait_loadcnt 0x1a
	v_fma_f32 v59, v70, v59, v68
	v_add_nc_u32_e32 v65, 1, v65
	v_add_co_u32 v2, s27, 0x6c, v2
	s_wait_alu 0xf1ff
	v_add_co_ci_u32_e64 v3, null, 0, v3, s27
	v_cndmask_b32_e64 v59, v68, v59, s2
	v_cmp_ge_i32_e64 s26, v65, v69
	v_add_nc_u32_e32 v58, s71, v58
	s_wait_loadcnt 0x19
	s_delay_alu instid0(VALU_DEP_3) | instskip(SKIP_1) | instid1(VALU_DEP_1)
	v_fma_f32 v68, v73, v75, v59
	s_or_b32 s99, s26, s99
	v_cndmask_b32_e64 v59, v59, v68, s3
	s_wait_loadcnt 0x18
	s_delay_alu instid0(VALU_DEP_1) | instskip(NEXT) | instid1(VALU_DEP_1)
	v_fma_f32 v68, v76, v74, v59
	v_cndmask_b32_e64 v59, v59, v68, s4
	s_wait_loadcnt 0x17
	s_delay_alu instid0(VALU_DEP_1) | instskip(NEXT) | instid1(VALU_DEP_1)
	v_fma_f32 v68, v77, v79, v59
	;; [unrolled: 4-line block ×24, first 2 shown]
	v_cndmask_b32_e32 v59, v59, v68, vcc_lo
	s_wait_loadcnt 0x0
	s_delay_alu instid0(VALU_DEP_1) | instskip(NEXT) | instid1(VALU_DEP_1)
	v_fma_f32 v68, v123, v121, v59
	v_cndmask_b32_e64 v68, v59, v68, s1
	s_wait_alu 0xfffe
	s_and_not1_b32 exec_lo, exec_lo, s99
	s_cbranch_execz .LBB18_2
.LBB18_7:                               ;   Parent Loop BB18_4 Depth=1
                                        ; =>  This Inner Loop Header: Depth=2
	global_load_b32 v70, v[2:3], off
	v_ashrrev_i32_e32 v59, 31, v58
	s_delay_alu instid0(VALU_DEP_1) | instskip(SKIP_1) | instid1(VALU_DEP_2)
	v_lshlrev_b64_e32 v[71:72], 2, v[58:59]
	v_mov_b32_e32 v59, 0
	v_add_co_u32 v71, s26, v66, v71
	s_wait_alu 0xf1ff
	s_delay_alu instid0(VALU_DEP_3)
	v_add_co_ci_u32_e64 v72, null, v67, v72, s26
	s_and_saveexec_b32 s27, s100
	s_cbranch_execz .LBB18_9
; %bb.8:                                ;   in Loop: Header=BB18_7 Depth=2
	v_add_co_u32 v73, s26, v71, v4
	s_wait_alu 0xf1ff
	v_add_co_ci_u32_e64 v74, null, v72, v5, s26
	global_load_b32 v59, v[73:74], off
.LBB18_9:                               ;   in Loop: Header=BB18_7 Depth=2
	s_wait_alu 0xfffe
	s_or_b32 exec_lo, exec_lo, s27
	global_load_b32 v73, v[2:3], off offset:4
	v_dual_mov_b32 v74, 0 :: v_dual_mov_b32 v75, 0
	s_and_saveexec_b32 s27, s101
	s_cbranch_execz .LBB18_11
; %bb.10:                               ;   in Loop: Header=BB18_7 Depth=2
	v_add_co_u32 v75, s26, v71, v6
	s_wait_alu 0xf1ff
	v_add_co_ci_u32_e64 v76, null, v72, v7, s26
	global_load_b32 v75, v[75:76], off
.LBB18_11:                              ;   in Loop: Header=BB18_7 Depth=2
	s_wait_alu 0xfffe
	s_or_b32 exec_lo, exec_lo, s27
	global_load_b32 v76, v[2:3], off offset:8
	s_and_saveexec_b32 s27, s34
	s_cbranch_execz .LBB18_13
; %bb.12:                               ;   in Loop: Header=BB18_7 Depth=2
	v_add_co_u32 v77, s26, v71, v8
	s_wait_alu 0xf1ff
	v_add_co_ci_u32_e64 v78, null, v72, v9, s26
	global_load_b32 v74, v[77:78], off
.LBB18_13:                              ;   in Loop: Header=BB18_7 Depth=2
	s_wait_alu 0xfffe
	s_or_b32 exec_lo, exec_lo, s27
	global_load_b32 v77, v[2:3], off offset:12
	v_dual_mov_b32 v78, 0 :: v_dual_mov_b32 v79, 0
	s_and_saveexec_b32 s27, s102
	s_cbranch_execz .LBB18_15
; %bb.14:                               ;   in Loop: Header=BB18_7 Depth=2
	v_add_co_u32 v79, s26, v71, v10
	s_wait_alu 0xf1ff
	v_add_co_ci_u32_e64 v80, null, v72, v11, s26
	global_load_b32 v79, v[79:80], off
.LBB18_15:                              ;   in Loop: Header=BB18_7 Depth=2
	s_wait_alu 0xfffe
	s_or_b32 exec_lo, exec_lo, s27
	global_load_b32 v80, v[2:3], off offset:16
	s_and_saveexec_b32 s27, s103
	s_cbranch_execz .LBB18_17
; %bb.16:                               ;   in Loop: Header=BB18_7 Depth=2
	v_add_co_u32 v81, s26, v71, v12
	s_wait_alu 0xf1ff
	v_add_co_ci_u32_e64 v82, null, v72, v13, s26
	global_load_b32 v78, v[81:82], off
.LBB18_17:                              ;   in Loop: Header=BB18_7 Depth=2
	;; [unrolled: 23-line block ×6, first 2 shown]
	s_wait_alu 0xfffe
	s_or_b32 exec_lo, exec_lo, s27
	global_load_b32 v97, v[2:3], off offset:52
	v_dual_mov_b32 v98, 0 :: v_dual_mov_b32 v99, 0
	s_and_saveexec_b32 s27, vcc_hi
	s_cbranch_execz .LBB18_35
; %bb.34:                               ;   in Loop: Header=BB18_7 Depth=2
	v_add_co_u32 v99, s26, v71, v30
	s_wait_alu 0xf1ff
	v_add_co_ci_u32_e64 v100, null, v72, v31, s26
	global_load_b32 v99, v[99:100], off
.LBB18_35:                              ;   in Loop: Header=BB18_7 Depth=2
	s_wait_alu 0xfffe
	s_or_b32 exec_lo, exec_lo, s27
	global_load_b32 v100, v[2:3], off offset:56
	s_and_saveexec_b32 s27, s48
	s_cbranch_execz .LBB18_37
; %bb.36:                               ;   in Loop: Header=BB18_7 Depth=2
	v_add_co_u32 v101, s26, v71, v32
	s_wait_alu 0xf1ff
	v_add_co_ci_u32_e64 v102, null, v72, v33, s26
	global_load_b32 v98, v[101:102], off
.LBB18_37:                              ;   in Loop: Header=BB18_7 Depth=2
	s_wait_alu 0xfffe
	s_or_b32 exec_lo, exec_lo, s27
	global_load_b32 v101, v[2:3], off offset:60
	v_dual_mov_b32 v102, 0 :: v_dual_mov_b32 v103, 0
	s_and_saveexec_b32 s27, s77
	s_cbranch_execz .LBB18_39
; %bb.38:                               ;   in Loop: Header=BB18_7 Depth=2
	v_add_co_u32 v103, s26, v71, v34
	s_wait_alu 0xf1ff
	v_add_co_ci_u32_e64 v104, null, v72, v35, s26
	global_load_b32 v103, v[103:104], off
.LBB18_39:                              ;   in Loop: Header=BB18_7 Depth=2
	s_wait_alu 0xfffe
	s_or_b32 exec_lo, exec_lo, s27
	global_load_b32 v104, v[2:3], off offset:64
	s_and_saveexec_b32 s27, s78
	s_cbranch_execz .LBB18_41
; %bb.40:                               ;   in Loop: Header=BB18_7 Depth=2
	v_add_co_u32 v105, s26, v71, v36
	s_wait_alu 0xf1ff
	v_add_co_ci_u32_e64 v106, null, v72, v37, s26
	global_load_b32 v102, v[105:106], off
.LBB18_41:                              ;   in Loop: Header=BB18_7 Depth=2
	s_wait_alu 0xfffe
	s_or_b32 exec_lo, exec_lo, s27
	global_load_b32 v105, v[2:3], off offset:68
	v_dual_mov_b32 v106, 0 :: v_dual_mov_b32 v107, 0
	s_and_saveexec_b32 s27, s36
	;; [unrolled: 23-line block ×6, first 2 shown]
	s_cbranch_execz .LBB18_59
; %bb.58:                               ;   in Loop: Header=BB18_7 Depth=2
	v_add_co_u32 v123, s26, v71, v54
	s_wait_alu 0xf1ff
	v_add_co_ci_u32_e64 v124, null, v72, v55, s26
	global_load_b32 v124, v[123:124], off
.LBB18_59:                              ;   in Loop: Header=BB18_7 Depth=2
	s_wait_alu 0xfffe
	s_or_b32 exec_lo, exec_lo, s27
	global_load_b32 v123, v[2:3], off offset:104
	s_and_saveexec_b32 s27, s28
	s_cbranch_execz .LBB18_6
; %bb.60:                               ;   in Loop: Header=BB18_7 Depth=2
	v_add_co_u32 v71, s26, v71, v56
	s_wait_alu 0xf1ff
	v_add_co_ci_u32_e64 v72, null, v72, v57, s26
	global_load_b32 v121, v[71:72], off
	s_branch .LBB18_6
.LBB18_61:                              ;   in Loop: Header=BB18_4 Depth=1
	v_mov_b32_e32 v68, 0
	s_branch .LBB18_3
.LBB18_62:
	s_nop 0
	s_sendmsg sendmsg(MSG_DEALLOC_VGPRS)
	s_endpgm
	.section	.rodata,"a",@progbits
	.p2align	6, 0x0
	.amdhsa_kernel _ZN2at6native12_GLOBAL__N_143conv_depthwise3d_cuda_backward_input_kernelIffLi3ELi3ELi3ELi1ELi1ELi1ELin1ELin1ELin1EEEvN5torch10headeronly6detail27GenericPackedTensorAccessorINS5_14TensorAccessorIN3c108ArrayRefIlEEKT_Lm4ENS4_16DefaultPtrTraitsEiEENS_6detail16IndexBoundsCheckILm5EiEESC_Lm5ESD_iEENS6_INS7_ISA_SB_Lm4ESD_iEESH_SB_Lm5ESD_iEESI_iiiiiiiii
		.amdhsa_group_segment_fixed_size 0
		.amdhsa_private_segment_fixed_size 0
		.amdhsa_kernarg_size 440
		.amdhsa_user_sgpr_count 2
		.amdhsa_user_sgpr_dispatch_ptr 0
		.amdhsa_user_sgpr_queue_ptr 0
		.amdhsa_user_sgpr_kernarg_segment_ptr 1
		.amdhsa_user_sgpr_dispatch_id 0
		.amdhsa_user_sgpr_private_segment_size 0
		.amdhsa_wavefront_size32 1
		.amdhsa_uses_dynamic_stack 0
		.amdhsa_enable_private_segment 0
		.amdhsa_system_sgpr_workgroup_id_x 1
		.amdhsa_system_sgpr_workgroup_id_y 0
		.amdhsa_system_sgpr_workgroup_id_z 0
		.amdhsa_system_sgpr_workgroup_info 0
		.amdhsa_system_vgpr_workitem_id 0
		.amdhsa_next_free_vgpr 126
		.amdhsa_next_free_sgpr 105
		.amdhsa_reserve_vcc 1
		.amdhsa_float_round_mode_32 0
		.amdhsa_float_round_mode_16_64 0
		.amdhsa_float_denorm_mode_32 3
		.amdhsa_float_denorm_mode_16_64 3
		.amdhsa_fp16_overflow 0
		.amdhsa_workgroup_processor_mode 1
		.amdhsa_memory_ordered 1
		.amdhsa_forward_progress 1
		.amdhsa_inst_pref_size 55
		.amdhsa_round_robin_scheduling 0
		.amdhsa_exception_fp_ieee_invalid_op 0
		.amdhsa_exception_fp_denorm_src 0
		.amdhsa_exception_fp_ieee_div_zero 0
		.amdhsa_exception_fp_ieee_overflow 0
		.amdhsa_exception_fp_ieee_underflow 0
		.amdhsa_exception_fp_ieee_inexact 0
		.amdhsa_exception_int_div_zero 0
	.end_amdhsa_kernel
	.section	.text._ZN2at6native12_GLOBAL__N_143conv_depthwise3d_cuda_backward_input_kernelIffLi3ELi3ELi3ELi1ELi1ELi1ELin1ELin1ELin1EEEvN5torch10headeronly6detail27GenericPackedTensorAccessorINS5_14TensorAccessorIN3c108ArrayRefIlEEKT_Lm4ENS4_16DefaultPtrTraitsEiEENS_6detail16IndexBoundsCheckILm5EiEESC_Lm5ESD_iEENS6_INS7_ISA_SB_Lm4ESD_iEESH_SB_Lm5ESD_iEESI_iiiiiiiii,"axG",@progbits,_ZN2at6native12_GLOBAL__N_143conv_depthwise3d_cuda_backward_input_kernelIffLi3ELi3ELi3ELi1ELi1ELi1ELin1ELin1ELin1EEEvN5torch10headeronly6detail27GenericPackedTensorAccessorINS5_14TensorAccessorIN3c108ArrayRefIlEEKT_Lm4ENS4_16DefaultPtrTraitsEiEENS_6detail16IndexBoundsCheckILm5EiEESC_Lm5ESD_iEENS6_INS7_ISA_SB_Lm4ESD_iEESH_SB_Lm5ESD_iEESI_iiiiiiiii,comdat
.Lfunc_end18:
	.size	_ZN2at6native12_GLOBAL__N_143conv_depthwise3d_cuda_backward_input_kernelIffLi3ELi3ELi3ELi1ELi1ELi1ELin1ELin1ELin1EEEvN5torch10headeronly6detail27GenericPackedTensorAccessorINS5_14TensorAccessorIN3c108ArrayRefIlEEKT_Lm4ENS4_16DefaultPtrTraitsEiEENS_6detail16IndexBoundsCheckILm5EiEESC_Lm5ESD_iEENS6_INS7_ISA_SB_Lm4ESD_iEESH_SB_Lm5ESD_iEESI_iiiiiiiii, .Lfunc_end18-_ZN2at6native12_GLOBAL__N_143conv_depthwise3d_cuda_backward_input_kernelIffLi3ELi3ELi3ELi1ELi1ELi1ELin1ELin1ELin1EEEvN5torch10headeronly6detail27GenericPackedTensorAccessorINS5_14TensorAccessorIN3c108ArrayRefIlEEKT_Lm4ENS4_16DefaultPtrTraitsEiEENS_6detail16IndexBoundsCheckILm5EiEESC_Lm5ESD_iEENS6_INS7_ISA_SB_Lm4ESD_iEESH_SB_Lm5ESD_iEESI_iiiiiiiii
                                        ; -- End function
	.set _ZN2at6native12_GLOBAL__N_143conv_depthwise3d_cuda_backward_input_kernelIffLi3ELi3ELi3ELi1ELi1ELi1ELin1ELin1ELin1EEEvN5torch10headeronly6detail27GenericPackedTensorAccessorINS5_14TensorAccessorIN3c108ArrayRefIlEEKT_Lm4ENS4_16DefaultPtrTraitsEiEENS_6detail16IndexBoundsCheckILm5EiEESC_Lm5ESD_iEENS6_INS7_ISA_SB_Lm4ESD_iEESH_SB_Lm5ESD_iEESI_iiiiiiiii.num_vgpr, 126
	.set _ZN2at6native12_GLOBAL__N_143conv_depthwise3d_cuda_backward_input_kernelIffLi3ELi3ELi3ELi1ELi1ELi1ELin1ELin1ELin1EEEvN5torch10headeronly6detail27GenericPackedTensorAccessorINS5_14TensorAccessorIN3c108ArrayRefIlEEKT_Lm4ENS4_16DefaultPtrTraitsEiEENS_6detail16IndexBoundsCheckILm5EiEESC_Lm5ESD_iEENS6_INS7_ISA_SB_Lm4ESD_iEESH_SB_Lm5ESD_iEESI_iiiiiiiii.num_agpr, 0
	.set _ZN2at6native12_GLOBAL__N_143conv_depthwise3d_cuda_backward_input_kernelIffLi3ELi3ELi3ELi1ELi1ELi1ELin1ELin1ELin1EEEvN5torch10headeronly6detail27GenericPackedTensorAccessorINS5_14TensorAccessorIN3c108ArrayRefIlEEKT_Lm4ENS4_16DefaultPtrTraitsEiEENS_6detail16IndexBoundsCheckILm5EiEESC_Lm5ESD_iEENS6_INS7_ISA_SB_Lm4ESD_iEESH_SB_Lm5ESD_iEESI_iiiiiiiii.numbered_sgpr, 105
	.set _ZN2at6native12_GLOBAL__N_143conv_depthwise3d_cuda_backward_input_kernelIffLi3ELi3ELi3ELi1ELi1ELi1ELin1ELin1ELin1EEEvN5torch10headeronly6detail27GenericPackedTensorAccessorINS5_14TensorAccessorIN3c108ArrayRefIlEEKT_Lm4ENS4_16DefaultPtrTraitsEiEENS_6detail16IndexBoundsCheckILm5EiEESC_Lm5ESD_iEENS6_INS7_ISA_SB_Lm4ESD_iEESH_SB_Lm5ESD_iEESI_iiiiiiiii.num_named_barrier, 0
	.set _ZN2at6native12_GLOBAL__N_143conv_depthwise3d_cuda_backward_input_kernelIffLi3ELi3ELi3ELi1ELi1ELi1ELin1ELin1ELin1EEEvN5torch10headeronly6detail27GenericPackedTensorAccessorINS5_14TensorAccessorIN3c108ArrayRefIlEEKT_Lm4ENS4_16DefaultPtrTraitsEiEENS_6detail16IndexBoundsCheckILm5EiEESC_Lm5ESD_iEENS6_INS7_ISA_SB_Lm4ESD_iEESH_SB_Lm5ESD_iEESI_iiiiiiiii.private_seg_size, 0
	.set _ZN2at6native12_GLOBAL__N_143conv_depthwise3d_cuda_backward_input_kernelIffLi3ELi3ELi3ELi1ELi1ELi1ELin1ELin1ELin1EEEvN5torch10headeronly6detail27GenericPackedTensorAccessorINS5_14TensorAccessorIN3c108ArrayRefIlEEKT_Lm4ENS4_16DefaultPtrTraitsEiEENS_6detail16IndexBoundsCheckILm5EiEESC_Lm5ESD_iEENS6_INS7_ISA_SB_Lm4ESD_iEESH_SB_Lm5ESD_iEESI_iiiiiiiii.uses_vcc, 1
	.set _ZN2at6native12_GLOBAL__N_143conv_depthwise3d_cuda_backward_input_kernelIffLi3ELi3ELi3ELi1ELi1ELi1ELin1ELin1ELin1EEEvN5torch10headeronly6detail27GenericPackedTensorAccessorINS5_14TensorAccessorIN3c108ArrayRefIlEEKT_Lm4ENS4_16DefaultPtrTraitsEiEENS_6detail16IndexBoundsCheckILm5EiEESC_Lm5ESD_iEENS6_INS7_ISA_SB_Lm4ESD_iEESH_SB_Lm5ESD_iEESI_iiiiiiiii.uses_flat_scratch, 0
	.set _ZN2at6native12_GLOBAL__N_143conv_depthwise3d_cuda_backward_input_kernelIffLi3ELi3ELi3ELi1ELi1ELi1ELin1ELin1ELin1EEEvN5torch10headeronly6detail27GenericPackedTensorAccessorINS5_14TensorAccessorIN3c108ArrayRefIlEEKT_Lm4ENS4_16DefaultPtrTraitsEiEENS_6detail16IndexBoundsCheckILm5EiEESC_Lm5ESD_iEENS6_INS7_ISA_SB_Lm4ESD_iEESH_SB_Lm5ESD_iEESI_iiiiiiiii.has_dyn_sized_stack, 0
	.set _ZN2at6native12_GLOBAL__N_143conv_depthwise3d_cuda_backward_input_kernelIffLi3ELi3ELi3ELi1ELi1ELi1ELin1ELin1ELin1EEEvN5torch10headeronly6detail27GenericPackedTensorAccessorINS5_14TensorAccessorIN3c108ArrayRefIlEEKT_Lm4ENS4_16DefaultPtrTraitsEiEENS_6detail16IndexBoundsCheckILm5EiEESC_Lm5ESD_iEENS6_INS7_ISA_SB_Lm4ESD_iEESH_SB_Lm5ESD_iEESI_iiiiiiiii.has_recursion, 0
	.set _ZN2at6native12_GLOBAL__N_143conv_depthwise3d_cuda_backward_input_kernelIffLi3ELi3ELi3ELi1ELi1ELi1ELin1ELin1ELin1EEEvN5torch10headeronly6detail27GenericPackedTensorAccessorINS5_14TensorAccessorIN3c108ArrayRefIlEEKT_Lm4ENS4_16DefaultPtrTraitsEiEENS_6detail16IndexBoundsCheckILm5EiEESC_Lm5ESD_iEENS6_INS7_ISA_SB_Lm4ESD_iEESH_SB_Lm5ESD_iEESI_iiiiiiiii.has_indirect_call, 0
	.section	.AMDGPU.csdata,"",@progbits
; Kernel info:
; codeLenInByte = 6960
; TotalNumSgprs: 107
; NumVgprs: 126
; ScratchSize: 0
; MemoryBound: 0
; FloatMode: 240
; IeeeMode: 1
; LDSByteSize: 0 bytes/workgroup (compile time only)
; SGPRBlocks: 0
; VGPRBlocks: 15
; NumSGPRsForWavesPerEU: 107
; NumVGPRsForWavesPerEU: 126
; Occupancy: 10
; WaveLimiterHint : 0
; COMPUTE_PGM_RSRC2:SCRATCH_EN: 0
; COMPUTE_PGM_RSRC2:USER_SGPR: 2
; COMPUTE_PGM_RSRC2:TRAP_HANDLER: 0
; COMPUTE_PGM_RSRC2:TGID_X_EN: 1
; COMPUTE_PGM_RSRC2:TGID_Y_EN: 0
; COMPUTE_PGM_RSRC2:TGID_Z_EN: 0
; COMPUTE_PGM_RSRC2:TIDIG_COMP_CNT: 0
	.section	.text._ZN2at6native12_GLOBAL__N_143conv_depthwise3d_cuda_backward_input_kernelIffLi3ELi3ELi3ELin1ELin1ELin1ELi1ELi1ELi1EEEvN5torch10headeronly6detail27GenericPackedTensorAccessorINS5_14TensorAccessorIN3c108ArrayRefIlEEKT_Lm4ENS4_16DefaultPtrTraitsEiEENS_6detail16IndexBoundsCheckILm5EiEESC_Lm5ESD_iEENS6_INS7_ISA_SB_Lm4ESD_iEESH_SB_Lm5ESD_iEESI_iiiiiiiii,"axG",@progbits,_ZN2at6native12_GLOBAL__N_143conv_depthwise3d_cuda_backward_input_kernelIffLi3ELi3ELi3ELin1ELin1ELin1ELi1ELi1ELi1EEEvN5torch10headeronly6detail27GenericPackedTensorAccessorINS5_14TensorAccessorIN3c108ArrayRefIlEEKT_Lm4ENS4_16DefaultPtrTraitsEiEENS_6detail16IndexBoundsCheckILm5EiEESC_Lm5ESD_iEENS6_INS7_ISA_SB_Lm4ESD_iEESH_SB_Lm5ESD_iEESI_iiiiiiiii,comdat
	.globl	_ZN2at6native12_GLOBAL__N_143conv_depthwise3d_cuda_backward_input_kernelIffLi3ELi3ELi3ELin1ELin1ELin1ELi1ELi1ELi1EEEvN5torch10headeronly6detail27GenericPackedTensorAccessorINS5_14TensorAccessorIN3c108ArrayRefIlEEKT_Lm4ENS4_16DefaultPtrTraitsEiEENS_6detail16IndexBoundsCheckILm5EiEESC_Lm5ESD_iEENS6_INS7_ISA_SB_Lm4ESD_iEESH_SB_Lm5ESD_iEESI_iiiiiiiii ; -- Begin function _ZN2at6native12_GLOBAL__N_143conv_depthwise3d_cuda_backward_input_kernelIffLi3ELi3ELi3ELin1ELin1ELin1ELi1ELi1ELi1EEEvN5torch10headeronly6detail27GenericPackedTensorAccessorINS5_14TensorAccessorIN3c108ArrayRefIlEEKT_Lm4ENS4_16DefaultPtrTraitsEiEENS_6detail16IndexBoundsCheckILm5EiEESC_Lm5ESD_iEENS6_INS7_ISA_SB_Lm4ESD_iEESH_SB_Lm5ESD_iEESI_iiiiiiiii
	.p2align	8
	.type	_ZN2at6native12_GLOBAL__N_143conv_depthwise3d_cuda_backward_input_kernelIffLi3ELi3ELi3ELin1ELin1ELin1ELi1ELi1ELi1EEEvN5torch10headeronly6detail27GenericPackedTensorAccessorINS5_14TensorAccessorIN3c108ArrayRefIlEEKT_Lm4ENS4_16DefaultPtrTraitsEiEENS_6detail16IndexBoundsCheckILm5EiEESC_Lm5ESD_iEENS6_INS7_ISA_SB_Lm4ESD_iEESH_SB_Lm5ESD_iEESI_iiiiiiiii,@function
_ZN2at6native12_GLOBAL__N_143conv_depthwise3d_cuda_backward_input_kernelIffLi3ELi3ELi3ELin1ELin1ELin1ELi1ELi1ELi1EEEvN5torch10headeronly6detail27GenericPackedTensorAccessorINS5_14TensorAccessorIN3c108ArrayRefIlEEKT_Lm4ENS4_16DefaultPtrTraitsEiEENS_6detail16IndexBoundsCheckILm5EiEESC_Lm5ESD_iEENS6_INS7_ISA_SB_Lm4ESD_iEESH_SB_Lm5ESD_iEESI_iiiiiiiii: ; @_ZN2at6native12_GLOBAL__N_143conv_depthwise3d_cuda_backward_input_kernelIffLi3ELi3ELi3ELin1ELin1ELin1ELi1ELi1ELi1EEEvN5torch10headeronly6detail27GenericPackedTensorAccessorINS5_14TensorAccessorIN3c108ArrayRefIlEEKT_Lm4ENS4_16DefaultPtrTraitsEiEENS_6detail16IndexBoundsCheckILm5EiEESC_Lm5ESD_iEENS6_INS7_ISA_SB_Lm4ESD_iEESH_SB_Lm5ESD_iEESI_iiiiiiiii
; %bb.0:
	s_clause 0x2
	s_load_b128 s[4:7], s[0:1], 0x38
	s_load_b32 s2, s[0:1], 0xc4
	s_load_b64 s[20:21], s[0:1], 0x48
	v_mov_b32_e32 v1, 0
	s_wait_kmcnt 0x0
	s_abs_i32 s33, s5
	s_and_b32 s2, s2, 0xffff
	s_cvt_f32_u32 s3, s33
	v_mad_co_u64_u32 v[0:1], null, s2, ttmp9, v[0:1]
	s_mul_i32 s22, s21, s4
	s_delay_alu instid0(SALU_CYCLE_1) | instskip(SKIP_2) | instid1(TRANS32_DEP_1)
	v_rcp_iflag_f32_e32 v2, s3
	s_ashr_i32 s23, s22, 31
	s_mov_b32 s4, exec_lo
	v_readfirstlane_b32 s3, v2
	v_cmpx_gt_i64_e64 s[22:23], v[0:1]
	s_cbranch_execz .LBB19_62
; %bb.1:
	s_clause 0x1
	s_load_b128 s[8:11], s[0:1], 0xc
	s_load_b64 s[26:27], s[0:1], 0x0
	s_mul_f32 s3, s3, 0x4f7ffffe
	s_sub_co_i32 s4, 0, s33
	s_mov_b32 s25, 0
	s_ashr_i32 s38, s5, 31
	s_wait_alu 0xfffe
	s_cvt_u32_f32 s3, s3
	s_mov_b32 s13, s25
	s_add_nc_u64 s[16:17], s[0:1], 0xb8
	s_load_b64 s[28:29], s[0:1], 0xac
	s_mul_i32 s12, s4, s3
	s_delay_alu instid0(SALU_CYCLE_1) | instskip(NEXT) | instid1(SALU_CYCLE_1)
	s_mul_hi_u32 s12, s3, s12
	s_add_co_i32 s12, s3, s12
	v_readfirstlane_b32 s3, v2
	s_mul_f32 s3, s3, 0x4f7ffffe
	s_wait_kmcnt 0x0
	s_abs_i32 s24, s8
	s_ashr_i32 s8, s8, 31
	s_mul_u64 s[18:19], s[24:25], s[12:13]
	s_xor_b32 s8, s8, s38
	s_mul_i32 s18, s19, s33
	s_clause 0x1
	s_load_b128 s[12:15], s[0:1], 0x9c
	s_load_b32 s39, s[0:1], 0x7c
	s_sub_co_i32 s18, s24, s18
	s_add_co_i32 s24, s19, 1
	s_sub_co_i32 s30, s18, s33
	s_cmp_ge_u32 s18, s33
	s_load_b32 s43, s[16:17], 0x0
	s_cselect_b32 s16, s24, s19
	s_cselect_b32 s17, s30, s18
	s_add_co_i32 s18, s16, 1
	s_cmp_ge_u32 s17, s33
	s_clause 0x1
	s_load_b64 s[30:31], s[0:1], 0x1c
	s_load_b64 s[34:35], s[0:1], 0x30
	s_cselect_b32 s16, s18, s16
	s_cvt_u32_f32 s3, s3
	s_xor_b32 s16, s16, s8
	s_delay_alu instid0(SALU_CYCLE_1)
	s_sub_co_i32 s8, s16, s8
	s_clause 0x1
	s_load_b64 s[36:37], s[0:1], 0x60
	s_load_b128 s[16:19], s[0:1], 0x50
	s_cmp_gt_i32 s8, 0
	s_mul_i32 s4, s4, s3
	s_cselect_b32 s24, -1, 0
	s_abs_i32 s40, s20
	s_abs_i32 s41, s7
	;; [unrolled: 1-line block ×3, first 2 shown]
	s_cvt_f32_u32 s0, s40
	s_cvt_f32_u32 s1, s41
	;; [unrolled: 1-line block ×3, first 2 shown]
	s_wait_kmcnt 0x0
	s_mul_i32 s43, s43, s2
	s_wait_alu 0xfffe
	v_rcp_iflag_f32_e32 v2, s0
	v_rcp_iflag_f32_e32 v3, s1
	;; [unrolled: 1-line block ×3, first 2 shown]
	s_sub_co_i32 s50, 0, s40
	s_sub_co_i32 s51, 0, s41
	;; [unrolled: 1-line block ×3, first 2 shown]
	s_mul_hi_u32 s4, s3, s4
	s_lshl_b32 s44, s29, 1
	s_lshl_b32 s45, s28, 1
	;; [unrolled: 1-line block ×3, first 2 shown]
	v_readfirstlane_b32 s0, v2
	v_readfirstlane_b32 s1, v3
	;; [unrolled: 1-line block ×3, first 2 shown]
	s_ashr_i32 s47, s20, 31
	s_ashr_i32 s48, s7, 31
	s_mul_f32 s0, s0, 0x4f7ffffe
	s_mul_f32 s1, s1, 0x4f7ffffe
	s_mul_f32 s2, s2, 0x4f7ffffe
	s_ashr_i32 s49, s6, 31
	s_wait_alu 0xfffe
	s_cvt_u32_f32 s0, s0
	s_cvt_u32_f32 s1, s1
	;; [unrolled: 1-line block ×3, first 2 shown]
	s_add_co_i32 s53, s3, s4
	s_wait_alu 0xfffe
	s_mul_i32 s50, s50, s0
	s_mul_i32 s51, s51, s1
	;; [unrolled: 1-line block ×3, first 2 shown]
	s_mul_hi_u32 s50, s0, s50
	s_mul_hi_u32 s51, s1, s51
	;; [unrolled: 1-line block ×3, first 2 shown]
	s_add_co_i32 s50, s0, s50
	s_add_co_i32 s51, s1, s51
	;; [unrolled: 1-line block ×3, first 2 shown]
	s_mul_i32 s54, s31, s8
	s_branch .LBB19_4
.LBB19_2:                               ;   in Loop: Header=BB19_4 Depth=1
	s_or_b32 exec_lo, exec_lo, s77
.LBB19_3:                               ;   in Loop: Header=BB19_4 Depth=1
	v_mul_lo_u32 v2, v63, s21
	v_mul_lo_u32 v4, s16, v64
	;; [unrolled: 1-line block ×4, first 2 shown]
	v_add_co_u32 v0, vcc_lo, v0, s43
	s_wait_alu 0xfffd
	v_add_co_ci_u32_e64 v1, null, 0, v1, vcc_lo
	v_ashrrev_i32_e32 v3, 31, v2
	v_ashrrev_i32_e32 v5, 31, v4
	;; [unrolled: 1-line block ×3, first 2 shown]
	v_mul_lo_u32 v10, s19, v60
	v_ashrrev_i32_e32 v9, 31, v8
	v_lshlrev_b64_e32 v[2:3], 2, v[2:3]
	v_lshlrev_b64_e32 v[4:5], 2, v[4:5]
	s_delay_alu instid0(VALU_DEP_4) | instskip(NEXT) | instid1(VALU_DEP_3)
	v_ashrrev_i32_e32 v11, 31, v10
	v_add_co_u32 v12, vcc_lo, s34, v2
	s_wait_alu 0xfffd
	s_delay_alu instid0(VALU_DEP_4) | instskip(SKIP_1) | instid1(VALU_DEP_3)
	v_add_co_ci_u32_e64 v13, null, s35, v3, vcc_lo
	v_lshlrev_b64_e32 v[2:3], 2, v[6:7]
	v_add_co_u32 v6, vcc_lo, v12, v4
	s_wait_alu 0xfffd
	s_delay_alu instid0(VALU_DEP_3) | instskip(SKIP_1) | instid1(VALU_DEP_3)
	v_add_co_ci_u32_e64 v7, null, v13, v5, vcc_lo
	v_lshlrev_b64_e32 v[4:5], 2, v[8:9]
	v_add_co_u32 v6, vcc_lo, v6, v2
	s_wait_alu 0xfffd
	s_delay_alu instid0(VALU_DEP_3) | instskip(SKIP_1) | instid1(VALU_DEP_3)
	;; [unrolled: 5-line block ×3, first 2 shown]
	v_add_co_ci_u32_e64 v5, null, v7, v5, vcc_lo
	v_cmp_le_i64_e32 vcc_lo, s[22:23], v[0:1]
	v_add_co_u32 v2, s0, v4, v2
	s_wait_alu 0xf1ff
	s_delay_alu instid0(VALU_DEP_3)
	v_add_co_ci_u32_e64 v3, null, v5, v3, s0
	s_or_b32 s25, vcc_lo, s25
	global_store_b32 v[2:3], v69, off
	s_and_not1_b32 exec_lo, exec_lo, s25
	s_cbranch_execz .LBB19_62
.LBB19_4:                               ; =>This Loop Header: Depth=1
                                        ;     Child Loop BB19_7 Depth 2
	v_sub_nc_u32_e32 v2, 0, v0
	s_delay_alu instid0(VALU_DEP_1) | instskip(NEXT) | instid1(VALU_DEP_1)
	v_max_i32_e32 v2, v0, v2
	v_mul_hi_u32 v3, v2, s50
	s_delay_alu instid0(VALU_DEP_1) | instskip(NEXT) | instid1(VALU_DEP_1)
	v_mul_lo_u32 v4, v3, s40
	v_sub_nc_u32_e32 v2, v2, v4
	v_add_nc_u32_e32 v4, 1, v3
	s_delay_alu instid0(VALU_DEP_2) | instskip(SKIP_2) | instid1(VALU_DEP_2)
	v_subrev_nc_u32_e32 v5, s40, v2
	v_cmp_le_u32_e32 vcc_lo, s40, v2
	s_wait_alu 0xfffd
	v_dual_cndmask_b32 v3, v3, v4 :: v_dual_cndmask_b32 v2, v2, v5
	v_ashrrev_i32_e32 v4, 31, v0
	s_delay_alu instid0(VALU_DEP_2) | instskip(NEXT) | instid1(VALU_DEP_3)
	v_add_nc_u32_e32 v5, 1, v3
	v_cmp_le_u32_e32 vcc_lo, s40, v2
	s_delay_alu instid0(VALU_DEP_3) | instskip(SKIP_1) | instid1(VALU_DEP_3)
	v_xor_b32_e32 v4, s47, v4
	s_wait_alu 0xfffd
	v_cndmask_b32_e32 v2, v3, v5, vcc_lo
	s_delay_alu instid0(VALU_DEP_1) | instskip(NEXT) | instid1(VALU_DEP_1)
	v_xor_b32_e32 v2, v2, v4
	v_sub_nc_u32_e32 v2, v2, v4
	s_delay_alu instid0(VALU_DEP_1) | instskip(NEXT) | instid1(VALU_DEP_1)
	v_sub_nc_u32_e32 v3, 0, v2
	v_max_i32_e32 v3, v2, v3
	s_delay_alu instid0(VALU_DEP_1) | instskip(NEXT) | instid1(VALU_DEP_1)
	v_mul_hi_u32 v4, v3, s51
	v_mul_lo_u32 v5, v4, s41
	s_delay_alu instid0(VALU_DEP_1) | instskip(SKIP_1) | instid1(VALU_DEP_2)
	v_sub_nc_u32_e32 v3, v3, v5
	v_add_nc_u32_e32 v5, 1, v4
	v_subrev_nc_u32_e32 v6, s41, v3
	v_cmp_le_u32_e32 vcc_lo, s41, v3
	s_wait_alu 0xfffd
	s_delay_alu instid0(VALU_DEP_2) | instskip(SKIP_1) | instid1(VALU_DEP_2)
	v_dual_cndmask_b32 v4, v4, v5 :: v_dual_cndmask_b32 v3, v3, v6
	v_ashrrev_i32_e32 v5, 31, v2
	v_add_nc_u32_e32 v6, 1, v4
	s_delay_alu instid0(VALU_DEP_3) | instskip(NEXT) | instid1(VALU_DEP_3)
	v_cmp_le_u32_e32 vcc_lo, s41, v3
	v_xor_b32_e32 v5, s48, v5
	s_wait_alu 0xfffd
	s_delay_alu instid0(VALU_DEP_3) | instskip(NEXT) | instid1(VALU_DEP_1)
	v_cndmask_b32_e32 v3, v4, v6, vcc_lo
	v_xor_b32_e32 v3, v3, v5
	s_delay_alu instid0(VALU_DEP_1) | instskip(NEXT) | instid1(VALU_DEP_1)
	v_sub_nc_u32_e32 v3, v3, v5
	v_sub_nc_u32_e32 v4, 0, v3
	s_delay_alu instid0(VALU_DEP_1) | instskip(NEXT) | instid1(VALU_DEP_1)
	v_max_i32_e32 v4, v3, v4
	v_mul_hi_u32 v5, v4, s52
	s_delay_alu instid0(VALU_DEP_1) | instskip(NEXT) | instid1(VALU_DEP_1)
	v_mul_lo_u32 v6, v5, s42
	v_sub_nc_u32_e32 v4, v4, v6
	v_add_nc_u32_e32 v6, 1, v5
	s_delay_alu instid0(VALU_DEP_2) | instskip(SKIP_2) | instid1(VALU_DEP_2)
	v_subrev_nc_u32_e32 v7, s42, v4
	v_cmp_le_u32_e32 vcc_lo, s42, v4
	s_wait_alu 0xfffd
	v_dual_cndmask_b32 v5, v5, v6 :: v_dual_cndmask_b32 v4, v4, v7
	v_ashrrev_i32_e32 v6, 31, v3
	s_delay_alu instid0(VALU_DEP_2) | instskip(NEXT) | instid1(VALU_DEP_3)
	v_add_nc_u32_e32 v7, 1, v5
	v_cmp_le_u32_e32 vcc_lo, s42, v4
	s_delay_alu instid0(VALU_DEP_3) | instskip(SKIP_1) | instid1(VALU_DEP_3)
	v_xor_b32_e32 v6, s49, v6
	s_wait_alu 0xfffd
	v_cndmask_b32_e32 v4, v5, v7, vcc_lo
	s_delay_alu instid0(VALU_DEP_1) | instskip(NEXT) | instid1(VALU_DEP_1)
	v_xor_b32_e32 v4, v4, v6
	v_sub_nc_u32_e32 v4, v4, v6
	s_delay_alu instid0(VALU_DEP_1) | instskip(NEXT) | instid1(VALU_DEP_1)
	v_sub_nc_u32_e32 v5, 0, v4
	v_max_i32_e32 v5, v4, v5
	s_delay_alu instid0(VALU_DEP_1) | instskip(NEXT) | instid1(VALU_DEP_1)
	v_mul_hi_u32 v6, v5, s53
	v_mul_lo_u32 v7, v6, s33
	s_delay_alu instid0(VALU_DEP_1) | instskip(SKIP_1) | instid1(VALU_DEP_2)
	v_sub_nc_u32_e32 v5, v5, v7
	v_add_nc_u32_e32 v7, 1, v6
	v_subrev_nc_u32_e32 v8, s33, v5
	v_cmp_le_u32_e32 vcc_lo, s33, v5
	s_wait_alu 0xfffd
	s_delay_alu instid0(VALU_DEP_2) | instskip(SKIP_1) | instid1(VALU_DEP_2)
	v_dual_cndmask_b32 v6, v6, v7 :: v_dual_cndmask_b32 v5, v5, v8
	v_ashrrev_i32_e32 v7, 31, v4
	v_add_nc_u32_e32 v8, 1, v6
	s_delay_alu instid0(VALU_DEP_3) | instskip(NEXT) | instid1(VALU_DEP_3)
	v_cmp_le_u32_e32 vcc_lo, s33, v5
	v_xor_b32_e32 v7, s38, v7
	s_wait_alu 0xfffd
	s_delay_alu instid0(VALU_DEP_3) | instskip(SKIP_2) | instid1(VALU_DEP_2)
	v_cndmask_b32_e32 v5, v6, v8, vcc_lo
	v_mul_lo_u32 v6, v3, s7
	s_and_not1_b32 vcc_lo, exec_lo, s24
	v_xor_b32_e32 v5, v5, v7
	s_delay_alu instid0(VALU_DEP_2) | instskip(NEXT) | instid1(VALU_DEP_2)
	v_sub_nc_u32_e32 v61, v2, v6
	v_sub_nc_u32_e32 v63, v5, v7
	v_mul_lo_u32 v5, v2, s20
	v_mul_lo_u32 v7, v4, s6
	s_delay_alu instid0(VALU_DEP_3) | instskip(NEXT) | instid1(VALU_DEP_3)
	v_mul_lo_u32 v8, v63, s5
	v_sub_nc_u32_e32 v60, v0, v5
	s_delay_alu instid0(VALU_DEP_3) | instskip(NEXT) | instid1(VALU_DEP_3)
	v_sub_nc_u32_e32 v62, v3, v7
	v_sub_nc_u32_e32 v64, v4, v8
	s_wait_alu 0xfffe
	s_cbranch_vccnz .LBB19_61
; %bb.5:                                ;   in Loop: Header=BB19_4 Depth=1
	s_delay_alu instid0(VALU_DEP_1) | instskip(SKIP_4) | instid1(VALU_DEP_3)
	v_mul_lo_u32 v65, v64, s8
	v_mul_lo_u32 v2, s30, v63
	v_add_nc_u32_e32 v7, s12, v62
	v_add_nc_u32_e32 v37, s13, v61
	v_dual_mov_b32 v69, 0 :: v_dual_add_nc_u32 v4, s14, v60
	v_mul_lo_u32 v16, v7, s10
	v_mul_lo_u32 v5, s39, v65
	v_ashrrev_i32_e32 v3, 31, v2
	s_delay_alu instid0(VALU_DEP_4)
	v_or_b32_e32 v8, v4, v37
	v_subrev_nc_u32_e32 v55, s29, v4
	v_cmp_gt_i32_e64 s0, s10, v37
	v_subrev_nc_u32_e32 v41, s46, v7
	v_lshlrev_b64_e32 v[2:3], 2, v[2:3]
	v_add_nc_u32_e32 v9, v37, v16
	v_ashrrev_i32_e32 v6, 31, v5
	v_subrev_nc_u32_e32 v23, s15, v7
	v_cmp_gt_i32_e32 vcc_lo, s9, v7
	v_subrev_nc_u32_e32 v57, s44, v4
	v_add_co_u32 v67, s1, s26, v2
	v_lshlrev_b64_e32 v[5:6], 2, v[5:6]
	s_wait_alu 0xf1ff
	v_add_co_ci_u32_e64 v68, null, s27, v3, s1
	v_mul_lo_u32 v10, v9, s11
	v_or_b32_e32 v9, v55, v37
	v_or_b32_e32 v42, v8, v41
	v_add_co_u32 v2, s1, s36, v5
	v_or_b32_e32 v5, v8, v7
	s_wait_alu 0xf1ff
	v_add_co_ci_u32_e64 v3, null, s37, v6, s1
	v_cmp_gt_i32_e64 s1, s11, v4
	v_or_b32_e32 v24, v8, v23
	v_cmp_lt_i32_e64 s2, -1, v5
	v_or_b32_e32 v8, v9, v7
	v_or_b32_e32 v11, v57, v37
	s_and_b32 s70, s1, s0
	v_subrev_nc_u32_e32 v44, s28, v37
	s_and_b32 s2, s70, s2
	v_cmp_lt_i32_e64 s3, -1, v8
	s_wait_alu 0xfffe
	s_and_b32 s55, s2, vcc_lo
	v_cmp_gt_i32_e64 s2, s11, v55
	v_or_b32_e32 v12, v11, v7
	v_or_b32_e32 v13, v4, v44
	;; [unrolled: 1-line block ×4, first 2 shown]
	s_and_b32 s71, s2, s0
	v_cmp_lt_i32_e64 s4, -1, v12
	s_and_b32 s3, s71, s3
	v_or_b32_e32 v14, v13, v7
	s_wait_alu 0xfffe
	s_and_b32 s56, s3, vcc_lo
	v_cmp_gt_i32_e64 s3, s11, v57
	v_add_nc_u32_e32 v12, v44, v16
	v_subrev_nc_u32_e32 v49, s45, v37
	v_or_b32_e32 v20, v17, v7
	v_or_b32_e32 v50, v17, v41
	s_and_b32 s72, s3, s0
	v_cmp_gt_i32_e64 s0, s10, v44
	s_and_b32 s4, s72, s4
	v_mul_lo_u32 v18, v12, s11
	s_wait_alu 0xfffe
	s_and_b32 s57, s4, vcc_lo
	v_cmp_lt_i32_e64 s4, -1, v14
	v_or_b32_e32 v14, v15, v7
	s_and_b32 s73, s1, s0
	s_and_b32 s74, s2, s0
	v_or_b32_e32 v19, v4, v49
	s_and_b32 s4, s73, s4
	v_add_nc_u32_e32 v12, v4, v18
	s_wait_alu 0xfffe
	s_and_b32 s58, s4, vcc_lo
	v_cmp_lt_i32_e64 s4, -1, v14
	v_add_nc_u32_e32 v14, v55, v18
	v_or_b32_e32 v31, v17, v23
	v_add_nc_u32_e32 v17, v49, v16
	v_add_nc_u32_e32 v16, v57, v18
	s_and_b32 s4, s74, s4
	v_or_b32_e32 v18, v19, v7
	s_wait_alu 0xfffe
	s_and_b32 s59, s4, vcc_lo
	v_cmp_lt_i32_e64 s4, -1, v20
	s_and_b32 s75, s3, s0
	v_or_b32_e32 v21, v55, v49
	v_cmp_gt_i32_e64 s0, s10, v49
	v_or_b32_e32 v22, v57, v49
	s_and_b32 s4, s75, s4
	v_or_b32_e32 v25, v9, v23
	s_wait_alu 0xfffe
	s_and_b32 s60, s4, vcc_lo
	v_cmp_lt_i32_e64 s4, -1, v18
	v_or_b32_e32 v20, v21, v7
	s_and_b32 s76, s1, s0
	v_or_b32_e32 v7, v22, v7
	s_and_b32 s77, s2, s0
	s_and_b32 s1, s76, s4
	;; [unrolled: 1-line block ×3, first 2 shown]
	s_wait_alu 0xfffe
	s_and_b32 s4, s1, vcc_lo
	v_cmp_lt_i32_e64 s1, -1, v20
	v_cmp_lt_i32_e64 s0, -1, v24
	v_or_b32_e32 v26, v11, v23
	v_or_b32_e32 v27, v13, v23
	;; [unrolled: 1-line block ×3, first 2 shown]
	s_and_b32 s1, s77, s1
	s_and_b32 s0, s70, s0
	s_wait_alu 0xfffe
	s_and_b32 s2, s1, vcc_lo
	v_cmp_lt_i32_e64 s1, -1, v7
	v_or_b32_e32 v33, v19, v23
	v_mul_lo_u32 v32, v23, s10
	v_or_b32_e32 v38, v21, v23
	v_or_b32_e32 v39, v22, v23
	s_and_b32 s1, s78, s1
	v_mul_lo_u32 v28, v17, s11
	s_wait_alu 0xfffe
	s_and_b32 s3, s1, vcc_lo
	v_cmp_gt_i32_e32 vcc_lo, s9, v23
	v_cmp_lt_i32_e64 s1, -1, v25
	v_add_nc_u32_e32 v7, v37, v32
	v_or_b32_e32 v43, v9, v41
	v_or_b32_e32 v58, v22, v41
	s_and_b32 s61, s0, vcc_lo
	v_cmp_lt_i32_e64 s0, -1, v26
	s_and_b32 s1, s71, s1
	v_mul_lo_u32 v7, v7, s11
	s_wait_alu 0xfffe
	s_and_b32 s62, s1, vcc_lo
	v_add_nc_u32_e32 v18, v4, v28
	s_and_b32 s1, s72, s0
	v_cmp_lt_i32_e64 s0, -1, v27
	s_wait_alu 0xfffe
	s_and_b32 s63, s1, vcc_lo
	v_cmp_lt_i32_e64 s1, -1, v29
	v_add_nc_u32_e32 v20, v55, v28
	v_add_nc_u32_e32 v22, v57, v28
	s_and_b32 s0, s73, s0
	v_add_nc_u32_e32 v28, v44, v32
	s_wait_alu 0xfffe
	s_and_b32 s64, s0, vcc_lo
	v_cmp_lt_i32_e64 s0, -1, v31
	s_and_b32 s1, s74, s1
	v_or_b32_e32 v45, v11, v41
	s_wait_alu 0xfffe
	s_and_b32 s65, s1, vcc_lo
	v_add_nc_u32_e32 v24, v4, v7
	s_and_b32 s1, s75, s0
	v_cmp_lt_i32_e64 s0, -1, v33
	s_wait_alu 0xfffe
	s_and_b32 s66, s1, vcc_lo
	v_cmp_lt_i32_e64 s1, -1, v39
	v_add_nc_u32_e32 v26, v55, v7
	v_mul_lo_u32 v34, v28, s11
	s_and_b32 s0, s76, s0
	v_add_nc_u32_e32 v28, v57, v7
	s_wait_alu 0xfffe
	s_and_b32 s67, s0, vcc_lo
	v_cmp_lt_i32_e64 s0, -1, v38
	s_and_b32 s1, s78, s1
	v_add_nc_u32_e32 v7, v49, v32
	s_wait_alu 0xfffe
	s_and_b32 s69, s1, vcc_lo
	v_mul_lo_u32 v52, v41, s10
	s_and_b32 s0, s77, s0
	v_or_b32_e32 v47, v15, v41
	s_wait_alu 0xfffe
	s_and_b32 s68, s0, vcc_lo
	v_cmp_lt_i32_e64 s0, -1, v42
	v_cmp_gt_i32_e32 vcc_lo, s9, v41
	v_mul_lo_u32 v7, v7, s11
	v_or_b32_e32 v46, v13, v41
	v_add_nc_u32_e32 v40, v37, v52
	s_and_b32 s1, s70, s0
	v_cmp_lt_i32_e64 s0, -1, v43
	s_wait_alu 0xfffe
	s_and_b32 s70, s1, vcc_lo
	v_or_b32_e32 v51, v19, v41
	v_mul_lo_u32 v48, v40, s11
	v_add_nc_u32_e32 v36, v4, v7
	s_and_b32 s1, s71, s0
	v_cmp_lt_i32_e64 s0, -1, v45
	s_wait_alu 0xfffe
	s_and_b32 s71, s1, vcc_lo
	v_cmp_lt_i32_e64 s1, -1, v46
	v_add_nc_u32_e32 v38, v55, v7
	v_add_nc_u32_e32 v40, v57, v7
	s_and_b32 s0, s72, s0
	v_add_nc_u32_e32 v7, v44, v52
	s_wait_alu 0xfffe
	s_and_b32 s72, s0, vcc_lo
	v_cmp_lt_i32_e64 s0, -1, v47
	v_add_nc_u32_e32 v52, v49, v52
	s_and_b32 s1, s73, s1
	v_mul_lo_u32 v7, v7, s11
	s_wait_alu 0xfffe
	s_and_b32 s73, s1, vcc_lo
	s_and_b32 s0, s74, s0
	v_mul_lo_u32 v59, v52, s11
	s_wait_alu 0xfffe
	s_and_b32 s74, s0, vcc_lo
	v_cmp_lt_i32_e64 s0, -1, v50
	v_cmp_lt_i32_e64 s1, -1, v51
	v_or_b32_e32 v56, v21, v41
	v_add_nc_u32_e32 v5, v4, v10
	v_add_nc_u32_e32 v8, v55, v10
	s_and_b32 s0, s75, s0
	v_add_nc_u32_e32 v10, v57, v10
	s_wait_alu 0xfffe
	s_and_b32 s75, s0, vcc_lo
	s_and_b32 s0, s76, s1
	v_add_nc_u32_e32 v30, v4, v34
	v_add_nc_u32_e32 v32, v55, v34
	;; [unrolled: 1-line block ×9, first 2 shown]
	s_wait_alu 0xfffe
	s_and_b32 s76, s0, vcc_lo
	v_add_nc_u32_e32 v54, v4, v59
	v_cmp_lt_i32_e64 s0, -1, v56
	v_add_nc_u32_e32 v56, v55, v59
	v_cmp_lt_i32_e64 s1, -1, v58
	v_add_nc_u32_e32 v58, v57, v59
	v_ashrrev_i32_e32 v6, 31, v5
	v_ashrrev_i32_e32 v9, 31, v8
	;; [unrolled: 1-line block ×27, first 2 shown]
	v_mul_lo_u32 v4, s54, v64
	v_lshlrev_b64_e32 v[6:7], 2, v[5:6]
	v_lshlrev_b64_e32 v[8:9], 2, v[8:9]
	;; [unrolled: 1-line block ×27, first 2 shown]
	v_add_nc_u32_e32 v66, s8, v65
	s_and_b32 s0, s77, s0
	s_and_b32 s77, s78, s1
	s_wait_alu 0xfffe
	s_and_b32 s1, s0, vcc_lo
	s_and_b32 s78, s77, vcc_lo
	s_mov_b32 s77, 0
	s_branch .LBB19_7
.LBB19_6:                               ;   in Loop: Header=BB19_7 Depth=2
	s_wait_alu 0xfffe
	s_or_b32 exec_lo, exec_lo, s0
	s_wait_loadcnt 0x1a
	v_dual_fmac_f32 v69, v70, v5 :: v_dual_add_nc_u32 v4, s31, v4
	v_add_nc_u32_e32 v65, 1, v65
	v_add_co_u32 v2, s0, 0x6c, v2
	s_wait_loadcnt 0x19
	s_delay_alu instid0(VALU_DEP_3)
	v_fmac_f32_e32 v69, v73, v75
	s_wait_alu 0xf1ff
	v_add_co_ci_u32_e64 v3, null, 0, v3, s0
	v_cmp_ge_i32_e32 vcc_lo, v65, v66
	s_wait_loadcnt 0x18
	v_fmac_f32_e32 v69, v76, v74
	s_or_b32 s77, vcc_lo, s77
	s_wait_loadcnt 0x17
	s_delay_alu instid0(VALU_DEP_1) | instskip(SKIP_1) | instid1(VALU_DEP_1)
	v_fmac_f32_e32 v69, v77, v79
	s_wait_loadcnt 0x16
	v_fmac_f32_e32 v69, v80, v78
	s_wait_loadcnt 0x15
	s_delay_alu instid0(VALU_DEP_1) | instskip(SKIP_1) | instid1(VALU_DEP_1)
	v_fmac_f32_e32 v69, v81, v83
	s_wait_loadcnt 0x14
	v_fmac_f32_e32 v69, v84, v82
	;; [unrolled: 5-line block ×12, first 2 shown]
	s_and_not1_b32 exec_lo, exec_lo, s77
	s_cbranch_execz .LBB19_2
.LBB19_7:                               ;   Parent Loop BB19_4 Depth=1
                                        ; =>  This Inner Loop Header: Depth=2
	global_load_b32 v70, v[2:3], off
	v_ashrrev_i32_e32 v5, 31, v4
	s_delay_alu instid0(VALU_DEP_1) | instskip(SKIP_1) | instid1(VALU_DEP_2)
	v_lshlrev_b64_e32 v[71:72], 2, v[4:5]
	v_mov_b32_e32 v5, 0
	v_add_co_u32 v71, vcc_lo, v67, v71
	s_wait_alu 0xfffd
	s_delay_alu instid0(VALU_DEP_3)
	v_add_co_ci_u32_e64 v72, null, v68, v72, vcc_lo
	s_and_saveexec_b32 s0, s55
	s_cbranch_execz .LBB19_9
; %bb.8:                                ;   in Loop: Header=BB19_7 Depth=2
	v_add_co_u32 v73, vcc_lo, v71, v6
	s_wait_alu 0xfffd
	v_add_co_ci_u32_e64 v74, null, v72, v7, vcc_lo
	global_load_b32 v5, v[73:74], off
.LBB19_9:                               ;   in Loop: Header=BB19_7 Depth=2
	s_wait_alu 0xfffe
	s_or_b32 exec_lo, exec_lo, s0
	global_load_b32 v73, v[2:3], off offset:4
	v_dual_mov_b32 v74, 0 :: v_dual_mov_b32 v75, 0
	s_and_saveexec_b32 s0, s56
	s_cbranch_execz .LBB19_11
; %bb.10:                               ;   in Loop: Header=BB19_7 Depth=2
	v_add_co_u32 v75, vcc_lo, v71, v8
	s_wait_alu 0xfffd
	v_add_co_ci_u32_e64 v76, null, v72, v9, vcc_lo
	global_load_b32 v75, v[75:76], off
.LBB19_11:                              ;   in Loop: Header=BB19_7 Depth=2
	s_wait_alu 0xfffe
	s_or_b32 exec_lo, exec_lo, s0
	global_load_b32 v76, v[2:3], off offset:8
	s_and_saveexec_b32 s0, s57
	s_cbranch_execz .LBB19_13
; %bb.12:                               ;   in Loop: Header=BB19_7 Depth=2
	v_add_co_u32 v77, vcc_lo, v71, v10
	s_wait_alu 0xfffd
	v_add_co_ci_u32_e64 v78, null, v72, v11, vcc_lo
	global_load_b32 v74, v[77:78], off
.LBB19_13:                              ;   in Loop: Header=BB19_7 Depth=2
	s_wait_alu 0xfffe
	s_or_b32 exec_lo, exec_lo, s0
	global_load_b32 v77, v[2:3], off offset:12
	v_dual_mov_b32 v78, 0 :: v_dual_mov_b32 v79, 0
	s_and_saveexec_b32 s0, s58
	s_cbranch_execz .LBB19_15
; %bb.14:                               ;   in Loop: Header=BB19_7 Depth=2
	v_add_co_u32 v79, vcc_lo, v71, v12
	s_wait_alu 0xfffd
	v_add_co_ci_u32_e64 v80, null, v72, v13, vcc_lo
	global_load_b32 v79, v[79:80], off
.LBB19_15:                              ;   in Loop: Header=BB19_7 Depth=2
	s_wait_alu 0xfffe
	s_or_b32 exec_lo, exec_lo, s0
	global_load_b32 v80, v[2:3], off offset:16
	s_and_saveexec_b32 s0, s59
	s_cbranch_execz .LBB19_17
; %bb.16:                               ;   in Loop: Header=BB19_7 Depth=2
	v_add_co_u32 v81, vcc_lo, v71, v14
	s_wait_alu 0xfffd
	v_add_co_ci_u32_e64 v82, null, v72, v15, vcc_lo
	global_load_b32 v78, v[81:82], off
.LBB19_17:                              ;   in Loop: Header=BB19_7 Depth=2
	;; [unrolled: 23-line block ×12, first 2 shown]
	s_wait_alu 0xfffe
	s_or_b32 exec_lo, exec_lo, s0
	global_load_b32 v121, v[2:3], off offset:100
	v_dual_mov_b32 v122, 0 :: v_dual_mov_b32 v123, 0
	s_and_saveexec_b32 s0, s1
	s_cbranch_execz .LBB19_59
; %bb.58:                               ;   in Loop: Header=BB19_7 Depth=2
	v_add_co_u32 v123, vcc_lo, v71, v56
	s_wait_alu 0xfffd
	v_add_co_ci_u32_e64 v124, null, v72, v57, vcc_lo
	global_load_b32 v123, v[123:124], off
.LBB19_59:                              ;   in Loop: Header=BB19_7 Depth=2
	s_wait_alu 0xfffe
	s_or_b32 exec_lo, exec_lo, s0
	global_load_b32 v124, v[2:3], off offset:104
	s_and_saveexec_b32 s0, s78
	s_cbranch_execz .LBB19_6
; %bb.60:                               ;   in Loop: Header=BB19_7 Depth=2
	v_add_co_u32 v71, vcc_lo, v71, v58
	s_wait_alu 0xfffd
	v_add_co_ci_u32_e64 v72, null, v72, v59, vcc_lo
	global_load_b32 v122, v[71:72], off
	s_branch .LBB19_6
.LBB19_61:                              ;   in Loop: Header=BB19_4 Depth=1
	v_mov_b32_e32 v69, 0
	s_branch .LBB19_3
.LBB19_62:
	s_nop 0
	s_sendmsg sendmsg(MSG_DEALLOC_VGPRS)
	s_endpgm
	.section	.rodata,"a",@progbits
	.p2align	6, 0x0
	.amdhsa_kernel _ZN2at6native12_GLOBAL__N_143conv_depthwise3d_cuda_backward_input_kernelIffLi3ELi3ELi3ELin1ELin1ELin1ELi1ELi1ELi1EEEvN5torch10headeronly6detail27GenericPackedTensorAccessorINS5_14TensorAccessorIN3c108ArrayRefIlEEKT_Lm4ENS4_16DefaultPtrTraitsEiEENS_6detail16IndexBoundsCheckILm5EiEESC_Lm5ESD_iEENS6_INS7_ISA_SB_Lm4ESD_iEESH_SB_Lm5ESD_iEESI_iiiiiiiii
		.amdhsa_group_segment_fixed_size 0
		.amdhsa_private_segment_fixed_size 0
		.amdhsa_kernarg_size 440
		.amdhsa_user_sgpr_count 2
		.amdhsa_user_sgpr_dispatch_ptr 0
		.amdhsa_user_sgpr_queue_ptr 0
		.amdhsa_user_sgpr_kernarg_segment_ptr 1
		.amdhsa_user_sgpr_dispatch_id 0
		.amdhsa_user_sgpr_private_segment_size 0
		.amdhsa_wavefront_size32 1
		.amdhsa_uses_dynamic_stack 0
		.amdhsa_enable_private_segment 0
		.amdhsa_system_sgpr_workgroup_id_x 1
		.amdhsa_system_sgpr_workgroup_id_y 0
		.amdhsa_system_sgpr_workgroup_id_z 0
		.amdhsa_system_sgpr_workgroup_info 0
		.amdhsa_system_vgpr_workitem_id 0
		.amdhsa_next_free_vgpr 125
		.amdhsa_next_free_sgpr 79
		.amdhsa_reserve_vcc 1
		.amdhsa_float_round_mode_32 0
		.amdhsa_float_round_mode_16_64 0
		.amdhsa_float_denorm_mode_32 3
		.amdhsa_float_denorm_mode_16_64 3
		.amdhsa_fp16_overflow 0
		.amdhsa_workgroup_processor_mode 1
		.amdhsa_memory_ordered 1
		.amdhsa_forward_progress 1
		.amdhsa_inst_pref_size 38
		.amdhsa_round_robin_scheduling 0
		.amdhsa_exception_fp_ieee_invalid_op 0
		.amdhsa_exception_fp_denorm_src 0
		.amdhsa_exception_fp_ieee_div_zero 0
		.amdhsa_exception_fp_ieee_overflow 0
		.amdhsa_exception_fp_ieee_underflow 0
		.amdhsa_exception_fp_ieee_inexact 0
		.amdhsa_exception_int_div_zero 0
	.end_amdhsa_kernel
	.section	.text._ZN2at6native12_GLOBAL__N_143conv_depthwise3d_cuda_backward_input_kernelIffLi3ELi3ELi3ELin1ELin1ELin1ELi1ELi1ELi1EEEvN5torch10headeronly6detail27GenericPackedTensorAccessorINS5_14TensorAccessorIN3c108ArrayRefIlEEKT_Lm4ENS4_16DefaultPtrTraitsEiEENS_6detail16IndexBoundsCheckILm5EiEESC_Lm5ESD_iEENS6_INS7_ISA_SB_Lm4ESD_iEESH_SB_Lm5ESD_iEESI_iiiiiiiii,"axG",@progbits,_ZN2at6native12_GLOBAL__N_143conv_depthwise3d_cuda_backward_input_kernelIffLi3ELi3ELi3ELin1ELin1ELin1ELi1ELi1ELi1EEEvN5torch10headeronly6detail27GenericPackedTensorAccessorINS5_14TensorAccessorIN3c108ArrayRefIlEEKT_Lm4ENS4_16DefaultPtrTraitsEiEENS_6detail16IndexBoundsCheckILm5EiEESC_Lm5ESD_iEENS6_INS7_ISA_SB_Lm4ESD_iEESH_SB_Lm5ESD_iEESI_iiiiiiiii,comdat
.Lfunc_end19:
	.size	_ZN2at6native12_GLOBAL__N_143conv_depthwise3d_cuda_backward_input_kernelIffLi3ELi3ELi3ELin1ELin1ELin1ELi1ELi1ELi1EEEvN5torch10headeronly6detail27GenericPackedTensorAccessorINS5_14TensorAccessorIN3c108ArrayRefIlEEKT_Lm4ENS4_16DefaultPtrTraitsEiEENS_6detail16IndexBoundsCheckILm5EiEESC_Lm5ESD_iEENS6_INS7_ISA_SB_Lm4ESD_iEESH_SB_Lm5ESD_iEESI_iiiiiiiii, .Lfunc_end19-_ZN2at6native12_GLOBAL__N_143conv_depthwise3d_cuda_backward_input_kernelIffLi3ELi3ELi3ELin1ELin1ELin1ELi1ELi1ELi1EEEvN5torch10headeronly6detail27GenericPackedTensorAccessorINS5_14TensorAccessorIN3c108ArrayRefIlEEKT_Lm4ENS4_16DefaultPtrTraitsEiEENS_6detail16IndexBoundsCheckILm5EiEESC_Lm5ESD_iEENS6_INS7_ISA_SB_Lm4ESD_iEESH_SB_Lm5ESD_iEESI_iiiiiiiii
                                        ; -- End function
	.set _ZN2at6native12_GLOBAL__N_143conv_depthwise3d_cuda_backward_input_kernelIffLi3ELi3ELi3ELin1ELin1ELin1ELi1ELi1ELi1EEEvN5torch10headeronly6detail27GenericPackedTensorAccessorINS5_14TensorAccessorIN3c108ArrayRefIlEEKT_Lm4ENS4_16DefaultPtrTraitsEiEENS_6detail16IndexBoundsCheckILm5EiEESC_Lm5ESD_iEENS6_INS7_ISA_SB_Lm4ESD_iEESH_SB_Lm5ESD_iEESI_iiiiiiiii.num_vgpr, 125
	.set _ZN2at6native12_GLOBAL__N_143conv_depthwise3d_cuda_backward_input_kernelIffLi3ELi3ELi3ELin1ELin1ELin1ELi1ELi1ELi1EEEvN5torch10headeronly6detail27GenericPackedTensorAccessorINS5_14TensorAccessorIN3c108ArrayRefIlEEKT_Lm4ENS4_16DefaultPtrTraitsEiEENS_6detail16IndexBoundsCheckILm5EiEESC_Lm5ESD_iEENS6_INS7_ISA_SB_Lm4ESD_iEESH_SB_Lm5ESD_iEESI_iiiiiiiii.num_agpr, 0
	.set _ZN2at6native12_GLOBAL__N_143conv_depthwise3d_cuda_backward_input_kernelIffLi3ELi3ELi3ELin1ELin1ELin1ELi1ELi1ELi1EEEvN5torch10headeronly6detail27GenericPackedTensorAccessorINS5_14TensorAccessorIN3c108ArrayRefIlEEKT_Lm4ENS4_16DefaultPtrTraitsEiEENS_6detail16IndexBoundsCheckILm5EiEESC_Lm5ESD_iEENS6_INS7_ISA_SB_Lm4ESD_iEESH_SB_Lm5ESD_iEESI_iiiiiiiii.numbered_sgpr, 79
	.set _ZN2at6native12_GLOBAL__N_143conv_depthwise3d_cuda_backward_input_kernelIffLi3ELi3ELi3ELin1ELin1ELin1ELi1ELi1ELi1EEEvN5torch10headeronly6detail27GenericPackedTensorAccessorINS5_14TensorAccessorIN3c108ArrayRefIlEEKT_Lm4ENS4_16DefaultPtrTraitsEiEENS_6detail16IndexBoundsCheckILm5EiEESC_Lm5ESD_iEENS6_INS7_ISA_SB_Lm4ESD_iEESH_SB_Lm5ESD_iEESI_iiiiiiiii.num_named_barrier, 0
	.set _ZN2at6native12_GLOBAL__N_143conv_depthwise3d_cuda_backward_input_kernelIffLi3ELi3ELi3ELin1ELin1ELin1ELi1ELi1ELi1EEEvN5torch10headeronly6detail27GenericPackedTensorAccessorINS5_14TensorAccessorIN3c108ArrayRefIlEEKT_Lm4ENS4_16DefaultPtrTraitsEiEENS_6detail16IndexBoundsCheckILm5EiEESC_Lm5ESD_iEENS6_INS7_ISA_SB_Lm4ESD_iEESH_SB_Lm5ESD_iEESI_iiiiiiiii.private_seg_size, 0
	.set _ZN2at6native12_GLOBAL__N_143conv_depthwise3d_cuda_backward_input_kernelIffLi3ELi3ELi3ELin1ELin1ELin1ELi1ELi1ELi1EEEvN5torch10headeronly6detail27GenericPackedTensorAccessorINS5_14TensorAccessorIN3c108ArrayRefIlEEKT_Lm4ENS4_16DefaultPtrTraitsEiEENS_6detail16IndexBoundsCheckILm5EiEESC_Lm5ESD_iEENS6_INS7_ISA_SB_Lm4ESD_iEESH_SB_Lm5ESD_iEESI_iiiiiiiii.uses_vcc, 1
	.set _ZN2at6native12_GLOBAL__N_143conv_depthwise3d_cuda_backward_input_kernelIffLi3ELi3ELi3ELin1ELin1ELin1ELi1ELi1ELi1EEEvN5torch10headeronly6detail27GenericPackedTensorAccessorINS5_14TensorAccessorIN3c108ArrayRefIlEEKT_Lm4ENS4_16DefaultPtrTraitsEiEENS_6detail16IndexBoundsCheckILm5EiEESC_Lm5ESD_iEENS6_INS7_ISA_SB_Lm4ESD_iEESH_SB_Lm5ESD_iEESI_iiiiiiiii.uses_flat_scratch, 0
	.set _ZN2at6native12_GLOBAL__N_143conv_depthwise3d_cuda_backward_input_kernelIffLi3ELi3ELi3ELin1ELin1ELin1ELi1ELi1ELi1EEEvN5torch10headeronly6detail27GenericPackedTensorAccessorINS5_14TensorAccessorIN3c108ArrayRefIlEEKT_Lm4ENS4_16DefaultPtrTraitsEiEENS_6detail16IndexBoundsCheckILm5EiEESC_Lm5ESD_iEENS6_INS7_ISA_SB_Lm4ESD_iEESH_SB_Lm5ESD_iEESI_iiiiiiiii.has_dyn_sized_stack, 0
	.set _ZN2at6native12_GLOBAL__N_143conv_depthwise3d_cuda_backward_input_kernelIffLi3ELi3ELi3ELin1ELin1ELin1ELi1ELi1ELi1EEEvN5torch10headeronly6detail27GenericPackedTensorAccessorINS5_14TensorAccessorIN3c108ArrayRefIlEEKT_Lm4ENS4_16DefaultPtrTraitsEiEENS_6detail16IndexBoundsCheckILm5EiEESC_Lm5ESD_iEENS6_INS7_ISA_SB_Lm4ESD_iEESH_SB_Lm5ESD_iEESI_iiiiiiiii.has_recursion, 0
	.set _ZN2at6native12_GLOBAL__N_143conv_depthwise3d_cuda_backward_input_kernelIffLi3ELi3ELi3ELin1ELin1ELin1ELi1ELi1ELi1EEEvN5torch10headeronly6detail27GenericPackedTensorAccessorINS5_14TensorAccessorIN3c108ArrayRefIlEEKT_Lm4ENS4_16DefaultPtrTraitsEiEENS_6detail16IndexBoundsCheckILm5EiEESC_Lm5ESD_iEENS6_INS7_ISA_SB_Lm4ESD_iEESH_SB_Lm5ESD_iEESI_iiiiiiiii.has_indirect_call, 0
	.section	.AMDGPU.csdata,"",@progbits
; Kernel info:
; codeLenInByte = 4784
; TotalNumSgprs: 81
; NumVgprs: 125
; ScratchSize: 0
; MemoryBound: 0
; FloatMode: 240
; IeeeMode: 1
; LDSByteSize: 0 bytes/workgroup (compile time only)
; SGPRBlocks: 0
; VGPRBlocks: 15
; NumSGPRsForWavesPerEU: 81
; NumVGPRsForWavesPerEU: 125
; Occupancy: 10
; WaveLimiterHint : 0
; COMPUTE_PGM_RSRC2:SCRATCH_EN: 0
; COMPUTE_PGM_RSRC2:USER_SGPR: 2
; COMPUTE_PGM_RSRC2:TRAP_HANDLER: 0
; COMPUTE_PGM_RSRC2:TGID_X_EN: 1
; COMPUTE_PGM_RSRC2:TGID_Y_EN: 0
; COMPUTE_PGM_RSRC2:TGID_Z_EN: 0
; COMPUTE_PGM_RSRC2:TIDIG_COMP_CNT: 0
	.section	.text._ZN2at6native12_GLOBAL__N_143conv_depthwise3d_cuda_backward_input_kernelIffLi3ELi3ELi3ELin1ELin1ELin1ELin1ELin1ELin1EEEvN5torch10headeronly6detail27GenericPackedTensorAccessorINS5_14TensorAccessorIN3c108ArrayRefIlEEKT_Lm4ENS4_16DefaultPtrTraitsEiEENS_6detail16IndexBoundsCheckILm5EiEESC_Lm5ESD_iEENS6_INS7_ISA_SB_Lm4ESD_iEESH_SB_Lm5ESD_iEESI_iiiiiiiii,"axG",@progbits,_ZN2at6native12_GLOBAL__N_143conv_depthwise3d_cuda_backward_input_kernelIffLi3ELi3ELi3ELin1ELin1ELin1ELin1ELin1ELin1EEEvN5torch10headeronly6detail27GenericPackedTensorAccessorINS5_14TensorAccessorIN3c108ArrayRefIlEEKT_Lm4ENS4_16DefaultPtrTraitsEiEENS_6detail16IndexBoundsCheckILm5EiEESC_Lm5ESD_iEENS6_INS7_ISA_SB_Lm4ESD_iEESH_SB_Lm5ESD_iEESI_iiiiiiiii,comdat
	.globl	_ZN2at6native12_GLOBAL__N_143conv_depthwise3d_cuda_backward_input_kernelIffLi3ELi3ELi3ELin1ELin1ELin1ELin1ELin1ELin1EEEvN5torch10headeronly6detail27GenericPackedTensorAccessorINS5_14TensorAccessorIN3c108ArrayRefIlEEKT_Lm4ENS4_16DefaultPtrTraitsEiEENS_6detail16IndexBoundsCheckILm5EiEESC_Lm5ESD_iEENS6_INS7_ISA_SB_Lm4ESD_iEESH_SB_Lm5ESD_iEESI_iiiiiiiii ; -- Begin function _ZN2at6native12_GLOBAL__N_143conv_depthwise3d_cuda_backward_input_kernelIffLi3ELi3ELi3ELin1ELin1ELin1ELin1ELin1ELin1EEEvN5torch10headeronly6detail27GenericPackedTensorAccessorINS5_14TensorAccessorIN3c108ArrayRefIlEEKT_Lm4ENS4_16DefaultPtrTraitsEiEENS_6detail16IndexBoundsCheckILm5EiEESC_Lm5ESD_iEENS6_INS7_ISA_SB_Lm4ESD_iEESH_SB_Lm5ESD_iEESI_iiiiiiiii
	.p2align	8
	.type	_ZN2at6native12_GLOBAL__N_143conv_depthwise3d_cuda_backward_input_kernelIffLi3ELi3ELi3ELin1ELin1ELin1ELin1ELin1ELin1EEEvN5torch10headeronly6detail27GenericPackedTensorAccessorINS5_14TensorAccessorIN3c108ArrayRefIlEEKT_Lm4ENS4_16DefaultPtrTraitsEiEENS_6detail16IndexBoundsCheckILm5EiEESC_Lm5ESD_iEENS6_INS7_ISA_SB_Lm4ESD_iEESH_SB_Lm5ESD_iEESI_iiiiiiiii,@function
_ZN2at6native12_GLOBAL__N_143conv_depthwise3d_cuda_backward_input_kernelIffLi3ELi3ELi3ELin1ELin1ELin1ELin1ELin1ELin1EEEvN5torch10headeronly6detail27GenericPackedTensorAccessorINS5_14TensorAccessorIN3c108ArrayRefIlEEKT_Lm4ENS4_16DefaultPtrTraitsEiEENS_6detail16IndexBoundsCheckILm5EiEESC_Lm5ESD_iEENS6_INS7_ISA_SB_Lm4ESD_iEESH_SB_Lm5ESD_iEESI_iiiiiiiii: ; @_ZN2at6native12_GLOBAL__N_143conv_depthwise3d_cuda_backward_input_kernelIffLi3ELi3ELi3ELin1ELin1ELin1ELin1ELin1ELin1EEEvN5torch10headeronly6detail27GenericPackedTensorAccessorINS5_14TensorAccessorIN3c108ArrayRefIlEEKT_Lm4ENS4_16DefaultPtrTraitsEiEENS_6detail16IndexBoundsCheckILm5EiEESC_Lm5ESD_iEENS6_INS7_ISA_SB_Lm4ESD_iEESH_SB_Lm5ESD_iEESI_iiiiiiiii
; %bb.0:
	s_clause 0x2
	s_load_b128 s[44:47], s[0:1], 0x38
	s_load_b32 s2, s[0:1], 0xc4
	s_load_b64 s[64:65], s[0:1], 0x48
	v_mov_b32_e32 v1, 0
                                        ; implicit-def: $vgpr125 : SGPR spill to VGPR lane
	s_wait_kmcnt 0x0
	s_abs_i32 s78, s45
	s_and_b32 s2, s2, 0xffff
	s_cvt_f32_u32 s3, s78
	v_mad_co_u64_u32 v[0:1], null, s2, ttmp9, v[0:1]
	s_mul_i32 s4, s65, s44
	s_delay_alu instid0(SALU_CYCLE_1) | instskip(SKIP_4) | instid1(TRANS32_DEP_1)
	v_rcp_iflag_f32_e32 v2, s3
	s_ashr_i32 s5, s4, 31
	v_writelane_b32 v125, s4, 0
	v_cmp_gt_i64_e32 vcc_lo, s[4:5], v[0:1]
	v_writelane_b32 v125, s5, 1
	v_readfirstlane_b32 s3, v2
	s_and_saveexec_b32 s4, vcc_lo
	s_cbranch_execz .LBB20_62
; %bb.1:
	s_clause 0x1
	s_load_b128 s[56:59], s[0:1], 0xc
	s_load_b64 s[6:7], s[0:1], 0x0
	s_mul_f32 s3, s3, 0x4f7ffffe
	s_sub_co_i32 s8, 0, s78
	s_load_b32 s11, s[0:1], 0x7c
	s_mov_b32 s69, 0
	s_cvt_u32_f32 s3, s3
	s_mov_b32 s5, s69
	s_ashr_i32 s71, s45, 31
	s_wait_alu 0xfffe
	s_mul_i32 s4, s8, s3
	s_wait_alu 0xfffe
	s_mul_hi_u32 s4, s3, s4
	s_wait_alu 0xfffe
	s_add_co_i32 s4, s3, s4
	s_wait_kmcnt 0x0
	s_abs_i32 s68, s56
	v_writelane_b32 v125, s6, 2
	s_wait_alu 0xfffe
	s_mul_u64 s[4:5], s[68:69], s[4:5]
	s_ashr_i32 s4, s56, 31
	s_wait_alu 0xfffe
	s_xor_b32 s4, s4, s71
	v_writelane_b32 v125, s7, 3
	s_add_nc_u64 s[6:7], s[0:1], 0xb8
	s_clause 0x1
	s_load_b256 s[48:55], s[0:1], 0x90
	s_load_b32 s10, s[0:1], 0xb0
	s_load_b32 s3, s[6:7], 0x0
	s_mul_i32 s6, s5, s78
	s_add_co_i32 s7, s5, 1
	s_wait_alu 0xfffe
	s_sub_co_i32 s6, s68, s6
	v_writelane_b32 v125, s11, 4
	s_wait_alu 0xfffe
	s_sub_co_i32 s9, s6, s78
	s_cmp_ge_u32 s6, s78
	s_clause 0x1
	s_load_b64 s[72:73], s[0:1], 0x1c
	s_load_b64 s[74:75], s[0:1], 0x30
	s_cselect_b32 s5, s7, s5
	s_cselect_b32 s6, s9, s6
	s_wait_alu 0xfffe
	s_add_co_i32 s7, s5, 1
	s_cmp_ge_u32 s6, s78
	s_clause 0x1
	s_load_b64 s[76:77], s[0:1], 0x60
	s_load_b128 s[60:63], s[0:1], 0x50
	s_cselect_b32 s5, s7, s5
	v_readfirstlane_b32 s6, v2
	s_wait_alu 0xfffe
	s_xor_b32 s5, s5, s4
	s_wait_alu 0xfffe
	s_sub_co_i32 s68, s5, s4
	s_delay_alu instid0(SALU_CYCLE_1)
	s_cmp_gt_i32 s68, 0
	s_wait_kmcnt 0x0
	s_mul_i32 s1, s3, s2
	s_mul_f32 s0, s6, 0x4f7ffffe
	s_wait_alu 0xfffe
	v_writelane_b32 v125, s1, 5
	s_cselect_b32 s1, -1, 0
	s_abs_i32 s86, s64
	s_abs_i32 s87, s47
	;; [unrolled: 1-line block ×3, first 2 shown]
	s_wait_alu 0xfffe
	v_writelane_b32 v125, s1, 6
	s_lshl_b32 s1, s10, 1
	s_cvt_f32_u32 s2, s87
	s_cvt_f32_u32 s3, s88
	s_ashr_i32 s4, s64, 31
	v_writelane_b32 v125, s10, 7
	s_wait_alu 0xfffe
	v_rcp_iflag_f32_e32 v3, s2
	v_rcp_iflag_f32_e32 v4, s3
	s_abs_i32 s92, s48
	s_sub_co_i32 s2, 0, s87
	v_writelane_b32 v125, s1, 8
	s_lshl_b32 s1, s55, 1
	s_cvt_f32_u32 s7, s92
	s_abs_i32 s93, s49
	s_abs_i32 s94, s50
	s_wait_alu 0xfffe
	v_writelane_b32 v125, s1, 9
	s_lshl_b32 s1, s54, 1
	v_readfirstlane_b32 s5, v4
	s_sub_co_i32 s6, 0, s88
	s_cvt_u32_f32 s0, s0
	s_wait_alu 0xfffe
	v_writelane_b32 v125, s1, 10
	s_cvt_f32_u32 s1, s86
	s_mul_f32 s5, s5, 0x4f7ffffe
	s_mul_i32 s8, s8, s0
	s_ashr_i32 s99, s48, 31
	s_wait_alu 0xfffe
	v_rcp_iflag_f32_e32 v2, s1
	v_writelane_b32 v125, s4, 11
	s_ashr_i32 s1, s47, 31
	v_readfirstlane_b32 s4, v3
	s_cvt_u32_f32 s5, s5
	s_ashr_i32 s101, s49, 31
	s_wait_alu 0xfffe
	v_writelane_b32 v125, s1, 12
	s_ashr_i32 s1, s46, 31
	s_mul_f32 s4, s4, 0x4f7ffffe
	s_mul_i32 s6, s6, s5
	v_readfirstlane_b32 s3, v2
	s_wait_alu 0xfffe
	v_writelane_b32 v125, s1, 13
	s_sub_co_i32 s1, 0, s86
	v_rcp_iflag_f32_e32 v2, s7
	s_cvt_u32_f32 s4, s4
	s_mul_f32 s3, s3, 0x4f7ffffe
	s_cvt_f32_u32 s7, s93
	s_ashr_i32 s103, s50, 31
	s_wait_alu 0xfffe
	s_mul_i32 s2, s2, s4
	s_cvt_u32_f32 s3, s3
	s_wait_alu 0xfffe
	s_mul_hi_u32 s2, s4, s2
	s_delay_alu instid0(SALU_CYCLE_1)
	s_mul_i32 s1, s1, s3
	s_wait_alu 0xfffe
	s_mul_hi_u32 s1, s3, s1
	s_wait_alu 0xfffe
	s_add_co_i32 s1, s3, s1
	s_mul_hi_u32 s3, s5, s6
	s_wait_alu 0xfffe
	v_writelane_b32 v125, s1, 14
	s_add_co_i32 s1, s4, s2
	s_cvt_f32_u32 s2, s94
	s_wait_alu 0xfffe
	v_writelane_b32 v125, s1, 15
	v_readfirstlane_b32 s1, v2
	v_rcp_iflag_f32_e32 v2, s7
	v_rcp_iflag_f32_e32 v3, s2
	s_add_co_i32 s2, s5, s3
	s_sub_co_i32 s3, 0, s92
	s_mul_f32 s1, s1, 0x4f7ffffe
	s_wait_alu 0xfffe
	v_writelane_b32 v125, s2, 16
	s_mul_hi_u32 s2, s0, s8
	s_cvt_u32_f32 s1, s1
	s_wait_alu 0xfffe
	s_add_co_i32 s0, s0, s2
	v_readfirstlane_b32 s4, v2
	s_wait_alu 0xfffe
	v_writelane_b32 v125, s0, 17
	v_readfirstlane_b32 s0, v3
	s_mul_i32 s3, s3, s1
	s_wait_alu 0xfffe
	s_mul_hi_u32 s2, s1, s3
	s_mul_f32 s3, s4, 0x4f7ffffe
	s_mul_f32 s0, s0, 0x4f7ffffe
	s_wait_alu 0xfffe
	s_add_co_i32 s100, s1, s2
	s_sub_co_i32 s2, 0, s93
	s_cvt_u32_f32 s1, s3
	s_cvt_u32_f32 s0, s0
	s_sub_co_i32 s3, 0, s94
	s_wait_alu 0xfffe
	s_mul_i32 s2, s2, s1
	s_mul_i32 s3, s3, s0
	s_wait_alu 0xfffe
	s_mul_hi_u32 s2, s1, s2
	s_wait_alu 0xfffe
	s_add_co_i32 s102, s1, s2
	s_mul_hi_u32 s1, s0, s3
	s_wait_alu 0xfffe
	s_add_co_i32 s104, s0, s1
	s_branch .LBB20_4
.LBB20_2:                               ;   in Loop: Header=BB20_4 Depth=1
	s_or_b32 exec_lo, exec_lo, s39
.LBB20_3:                               ;   in Loop: Header=BB20_4 Depth=1
	v_mul_lo_u32 v2, v63, s65
	v_mul_lo_u32 v4, s60, v64
	;; [unrolled: 1-line block ×3, first 2 shown]
	v_readlane_b32 s0, v125, 5
	v_mul_lo_u32 v8, s62, v61
	v_mul_lo_u32 v10, s63, v60
	s_wait_alu 0xf1ff
	s_delay_alu instid0(VALU_DEP_3)
	v_add_co_u32 v0, vcc_lo, v0, s0
	v_ashrrev_i32_e32 v3, 31, v2
	v_ashrrev_i32_e32 v5, 31, v4
	;; [unrolled: 1-line block ×3, first 2 shown]
	s_wait_alu 0xfffd
	v_add_co_ci_u32_e64 v1, null, 0, v1, vcc_lo
	v_lshlrev_b64_e32 v[2:3], 2, v[2:3]
	v_lshlrev_b64_e32 v[4:5], 2, v[4:5]
	v_ashrrev_i32_e32 v9, 31, v8
	v_ashrrev_i32_e32 v11, 31, v10
	v_readlane_b32 s0, v125, 0
	v_readlane_b32 s1, v125, 1
	v_add_co_u32 v12, vcc_lo, s74, v2
	s_wait_alu 0xfffd
	v_add_co_ci_u32_e64 v13, null, s75, v3, vcc_lo
	v_lshlrev_b64_e32 v[2:3], 2, v[6:7]
	s_delay_alu instid0(VALU_DEP_3) | instskip(SKIP_1) | instid1(VALU_DEP_3)
	v_add_co_u32 v6, vcc_lo, v12, v4
	s_wait_alu 0xfffd
	v_add_co_ci_u32_e64 v7, null, v13, v5, vcc_lo
	v_lshlrev_b64_e32 v[4:5], 2, v[8:9]
	s_delay_alu instid0(VALU_DEP_3) | instskip(SKIP_1) | instid1(VALU_DEP_3)
	;; [unrolled: 5-line block ×3, first 2 shown]
	v_add_co_u32 v4, vcc_lo, v6, v4
	s_wait_alu 0xfffd
	v_add_co_ci_u32_e64 v5, null, v7, v5, vcc_lo
	s_wait_alu 0xf1ff
	v_cmp_le_i64_e32 vcc_lo, s[0:1], v[0:1]
	v_add_co_u32 v2, s0, v4, v2
	s_wait_alu 0xf1ff
	v_add_co_ci_u32_e64 v3, null, v5, v3, s0
	s_or_b32 s69, vcc_lo, s69
	global_store_b32 v[2:3], v68, off
	s_wait_alu 0xfffe
	s_and_not1_b32 exec_lo, exec_lo, s69
	s_cbranch_execz .LBB20_62
.LBB20_4:                               ; =>This Loop Header: Depth=1
                                        ;     Child Loop BB20_7 Depth 2
	v_sub_nc_u32_e32 v2, 0, v0
	v_readlane_b32 s0, v125, 14
	s_delay_alu instid0(VALU_DEP_2) | instskip(SKIP_1) | instid1(VALU_DEP_1)
	v_max_i32_e32 v2, v0, v2
	s_wait_alu 0xf1ff
	v_mul_hi_u32 v3, v2, s0
	v_readlane_b32 s0, v125, 11
	s_delay_alu instid0(VALU_DEP_2) | instskip(NEXT) | instid1(VALU_DEP_1)
	v_mul_lo_u32 v4, v3, s86
	v_sub_nc_u32_e32 v2, v2, v4
	v_add_nc_u32_e32 v4, 1, v3
	s_delay_alu instid0(VALU_DEP_2) | instskip(SKIP_2) | instid1(VALU_DEP_2)
	v_subrev_nc_u32_e32 v5, s86, v2
	v_cmp_le_u32_e32 vcc_lo, s86, v2
	s_wait_alu 0xfffd
	v_dual_cndmask_b32 v3, v3, v4 :: v_dual_cndmask_b32 v2, v2, v5
	v_ashrrev_i32_e32 v4, 31, v0
	s_delay_alu instid0(VALU_DEP_2) | instskip(NEXT) | instid1(VALU_DEP_3)
	v_add_nc_u32_e32 v5, 1, v3
	v_cmp_le_u32_e32 vcc_lo, s86, v2
	s_wait_alu 0xf1ff
	s_delay_alu instid0(VALU_DEP_3) | instskip(SKIP_3) | instid1(VALU_DEP_1)
	v_xor_b32_e32 v4, s0, v4
	v_readlane_b32 s0, v125, 15
	s_wait_alu 0xfffd
	v_cndmask_b32_e32 v2, v3, v5, vcc_lo
	v_xor_b32_e32 v2, v2, v4
	s_delay_alu instid0(VALU_DEP_1) | instskip(NEXT) | instid1(VALU_DEP_1)
	v_sub_nc_u32_e32 v2, v2, v4
	v_sub_nc_u32_e32 v3, 0, v2
	s_delay_alu instid0(VALU_DEP_1) | instskip(SKIP_1) | instid1(VALU_DEP_1)
	v_max_i32_e32 v3, v2, v3
	s_wait_alu 0xf1ff
	v_mul_hi_u32 v4, v3, s0
	v_readlane_b32 s0, v125, 12
	s_delay_alu instid0(VALU_DEP_2) | instskip(NEXT) | instid1(VALU_DEP_1)
	v_mul_lo_u32 v5, v4, s87
	v_sub_nc_u32_e32 v3, v3, v5
	v_add_nc_u32_e32 v5, 1, v4
	s_delay_alu instid0(VALU_DEP_2) | instskip(SKIP_2) | instid1(VALU_DEP_2)
	v_subrev_nc_u32_e32 v6, s87, v3
	v_cmp_le_u32_e32 vcc_lo, s87, v3
	s_wait_alu 0xfffd
	v_dual_cndmask_b32 v4, v4, v5 :: v_dual_cndmask_b32 v3, v3, v6
	v_ashrrev_i32_e32 v5, 31, v2
	s_delay_alu instid0(VALU_DEP_2) | instskip(NEXT) | instid1(VALU_DEP_3)
	v_add_nc_u32_e32 v6, 1, v4
	v_cmp_le_u32_e32 vcc_lo, s87, v3
	s_wait_alu 0xf1ff
	s_delay_alu instid0(VALU_DEP_3) | instskip(SKIP_3) | instid1(VALU_DEP_1)
	v_xor_b32_e32 v5, s0, v5
	v_readlane_b32 s0, v125, 16
	s_wait_alu 0xfffd
	v_cndmask_b32_e32 v3, v4, v6, vcc_lo
	v_xor_b32_e32 v3, v3, v5
	s_delay_alu instid0(VALU_DEP_1) | instskip(NEXT) | instid1(VALU_DEP_1)
	v_sub_nc_u32_e32 v3, v3, v5
	v_sub_nc_u32_e32 v4, 0, v3
	s_delay_alu instid0(VALU_DEP_1) | instskip(SKIP_1) | instid1(VALU_DEP_1)
	;; [unrolled: 28-line block ×3, first 2 shown]
	v_max_i32_e32 v5, v4, v5
	s_wait_alu 0xf1ff
	v_mul_hi_u32 v6, v5, s0
	v_readlane_b32 s0, v125, 6
	s_delay_alu instid0(VALU_DEP_2) | instskip(NEXT) | instid1(VALU_DEP_1)
	v_mul_lo_u32 v7, v6, s78
	v_sub_nc_u32_e32 v5, v5, v7
	v_add_nc_u32_e32 v7, 1, v6
	s_delay_alu instid0(VALU_DEP_2) | instskip(SKIP_2) | instid1(VALU_DEP_2)
	v_subrev_nc_u32_e32 v8, s78, v5
	v_cmp_le_u32_e32 vcc_lo, s78, v5
	s_wait_alu 0xfffd
	v_dual_cndmask_b32 v6, v6, v7 :: v_dual_cndmask_b32 v5, v5, v8
	v_ashrrev_i32_e32 v7, 31, v4
	s_delay_alu instid0(VALU_DEP_2) | instskip(NEXT) | instid1(VALU_DEP_3)
	v_add_nc_u32_e32 v8, 1, v6
	v_cmp_le_u32_e32 vcc_lo, s78, v5
	s_delay_alu instid0(VALU_DEP_3) | instskip(SKIP_1) | instid1(VALU_DEP_3)
	v_xor_b32_e32 v7, s71, v7
	s_wait_alu 0xfffd
	v_cndmask_b32_e32 v5, v6, v8, vcc_lo
	v_mul_lo_u32 v6, v3, s47
	s_and_not1_b32 vcc_lo, exec_lo, s0
	s_delay_alu instid0(VALU_DEP_2) | instskip(NEXT) | instid1(VALU_DEP_2)
	v_xor_b32_e32 v5, v5, v7
	v_sub_nc_u32_e32 v61, v2, v6
	s_delay_alu instid0(VALU_DEP_2) | instskip(SKIP_2) | instid1(VALU_DEP_3)
	v_sub_nc_u32_e32 v63, v5, v7
	v_mul_lo_u32 v5, v2, s64
	v_mul_lo_u32 v7, v4, s46
	;; [unrolled: 1-line block ×3, first 2 shown]
	s_delay_alu instid0(VALU_DEP_3) | instskip(NEXT) | instid1(VALU_DEP_3)
	v_sub_nc_u32_e32 v60, v0, v5
	v_sub_nc_u32_e32 v62, v3, v7
	s_delay_alu instid0(VALU_DEP_3)
	v_sub_nc_u32_e32 v64, v4, v8
	s_wait_alu 0xfffe
	s_cbranch_vccnz .LBB20_61
; %bb.5:                                ;   in Loop: Header=BB20_4 Depth=1
	v_add_nc_u32_e32 v5, s53, v60
	s_delay_alu instid0(VALU_DEP_2)
	v_mul_lo_u32 v65, v64, s68
	v_readlane_b32 s0, v125, 4
	v_readlane_b32 s1, v125, 9
	;; [unrolled: 1-line block ×3, first 2 shown]
	v_sub_nc_u32_e32 v2, 0, v5
	v_add_nc_u32_e32 v10, s52, v61
	s_delay_alu instid0(VALU_DEP_2) | instskip(NEXT) | instid1(VALU_DEP_1)
	v_max_i32_e32 v2, v5, v2
	v_mul_hi_u32 v3, v2, s104
	s_delay_alu instid0(VALU_DEP_1) | instskip(NEXT) | instid1(VALU_DEP_1)
	v_mul_lo_u32 v4, v3, s94
	v_sub_nc_u32_e32 v2, v2, v4
	v_add_nc_u32_e32 v4, 1, v3
	s_delay_alu instid0(VALU_DEP_2) | instskip(SKIP_2) | instid1(VALU_DEP_2)
	v_subrev_nc_u32_e32 v6, s94, v2
	v_cmp_le_u32_e32 vcc_lo, s94, v2
	s_wait_alu 0xfffd
	v_dual_cndmask_b32 v6, v2, v6 :: v_dual_cndmask_b32 v3, v3, v4
	v_ashrrev_i32_e32 v4, 31, v5
	s_wait_alu 0xf1ff
	v_mul_lo_u32 v2, s0, v65
	v_readlane_b32 s0, v125, 7
	v_cmp_le_u32_e32 vcc_lo, s94, v6
	v_add_nc_u32_e32 v7, 1, v3
	v_xor_b32_e32 v4, s103, v4
	s_wait_alu 0xfffd
	s_delay_alu instid0(VALU_DEP_2) | instskip(SKIP_3) | instid1(VALU_DEP_3)
	v_cndmask_b32_e32 v3, v3, v7, vcc_lo
	s_wait_alu 0xf1ff
	v_subrev_nc_u32_e32 v7, s0, v5
	v_readlane_b32 s0, v125, 8
	v_xor_b32_e32 v6, v3, v4
	s_delay_alu instid0(VALU_DEP_3) | instskip(SKIP_1) | instid1(VALU_DEP_3)
	v_sub_nc_u32_e32 v9, 0, v7
	s_wait_alu 0xf1ff
	v_subrev_nc_u32_e32 v8, s0, v5
	v_ashrrev_i32_e32 v3, 31, v2
	v_sub_nc_u32_e32 v4, v6, v4
	v_max_i32_e32 v6, v7, v9
	s_delay_alu instid0(VALU_DEP_4) | instskip(NEXT) | instid1(VALU_DEP_4)
	v_sub_nc_u32_e32 v11, 0, v8
	v_lshlrev_b64_e32 v[2:3], 2, v[2:3]
	v_subrev_nc_u32_e32 v9, s55, v10
	v_mul_lo_u32 v12, v4, s50
	v_mul_hi_u32 v13, v6, s104
	v_max_i32_e32 v11, v8, v11
	v_cmp_gt_i32_e64 s42, s59, v4
	v_add_co_u32 v2, vcc_lo, s76, v2
	v_sub_nc_u32_e32 v14, 0, v9
	s_wait_alu 0xfffd
	v_add_co_ci_u32_e64 v3, null, s77, v3, vcc_lo
	v_mul_hi_u32 v15, v11, s104
	v_cmp_eq_u32_e32 vcc_lo, v12, v5
	v_mul_lo_u32 v5, v13, s94
	v_max_i32_e32 v12, v9, v14
	s_delay_alu instid0(VALU_DEP_4) | instskip(NEXT) | instid1(VALU_DEP_3)
	v_mul_lo_u32 v14, v15, s94
	v_sub_nc_u32_e32 v5, v6, v5
	s_delay_alu instid0(VALU_DEP_3) | instskip(NEXT) | instid1(VALU_DEP_2)
	v_mul_hi_u32 v6, v12, s102
	v_cmp_le_u32_e64 s0, s94, v5
	s_delay_alu instid0(VALU_DEP_4) | instskip(NEXT) | instid1(VALU_DEP_3)
	v_sub_nc_u32_e32 v11, v11, v14
	v_mul_lo_u32 v14, v6, s93
	s_delay_alu instid0(VALU_DEP_1) | instskip(SKIP_2) | instid1(VALU_DEP_1)
	v_sub_nc_u32_e32 v12, v12, v14
	v_add_nc_u32_e32 v14, 1, v13
	s_wait_alu 0xf1ff
	v_cndmask_b32_e64 v13, v13, v14, s0
	v_subrev_nc_u32_e32 v14, s94, v5
	s_delay_alu instid0(VALU_DEP_1) | instskip(SKIP_3) | instid1(VALU_DEP_1)
	v_cndmask_b32_e64 v5, v5, v14, s0
	v_subrev_nc_u32_e32 v14, s94, v11
	v_cmp_le_u32_e64 s0, s94, v11
	s_wait_alu 0xf1ff
	v_cndmask_b32_e64 v11, v11, v14, s0
	v_add_nc_u32_e32 v14, 1, v15
	s_delay_alu instid0(VALU_DEP_1) | instskip(SKIP_3) | instid1(VALU_DEP_1)
	v_cndmask_b32_e64 v14, v15, v14, s0
	v_subrev_nc_u32_e32 v15, s93, v12
	v_cmp_le_u32_e64 s0, s93, v12
	s_wait_alu 0xf1ff
	v_cndmask_b32_e64 v12, v12, v15, s0
	v_add_nc_u32_e32 v15, 1, v6
	s_delay_alu instid0(VALU_DEP_1) | instskip(SKIP_4) | instid1(VALU_DEP_2)
	v_cndmask_b32_e64 v15, v6, v15, s0
	v_add_nc_u32_e32 v6, 1, v13
	v_cmp_le_u32_e64 s0, s94, v5
	v_sub_nc_u32_e32 v5, 0, v10
	s_wait_alu 0xf1ff
	v_cndmask_b32_e64 v6, v13, v6, s0
	v_cmp_le_u32_e64 s0, s94, v11
	v_ashrrev_i32_e32 v11, 31, v7
	v_add_nc_u32_e32 v13, 1, v14
	v_max_i32_e32 v16, v10, v5
	s_delay_alu instid0(VALU_DEP_3) | instskip(SKIP_1) | instid1(VALU_DEP_3)
	v_xor_b32_e32 v5, s103, v11
	s_wait_alu 0xf1ff
	v_cndmask_b32_e64 v11, v14, v13, s0
	s_delay_alu instid0(VALU_DEP_3) | instskip(SKIP_2) | instid1(VALU_DEP_1)
	v_mul_hi_u32 v13, v16, s102
	v_cmp_le_u32_e64 s0, s93, v12
	v_xor_b32_e32 v6, v6, v5
	v_sub_nc_u32_e32 v5, v6, v5
	s_delay_alu instid0(VALU_DEP_4) | instskip(NEXT) | instid1(VALU_DEP_2)
	v_mul_lo_u32 v6, v13, s93
	v_cmp_gt_i32_e64 s43, s59, v5
	s_delay_alu instid0(VALU_DEP_2) | instskip(SKIP_1) | instid1(VALU_DEP_2)
	v_sub_nc_u32_e32 v14, v16, v6
	v_ashrrev_i32_e32 v6, 31, v8
	v_subrev_nc_u32_e32 v12, s93, v14
	s_delay_alu instid0(VALU_DEP_2) | instskip(NEXT) | instid1(VALU_DEP_1)
	v_xor_b32_e32 v6, s103, v6
	v_xor_b32_e32 v11, v11, v6
	s_delay_alu instid0(VALU_DEP_1) | instskip(SKIP_1) | instid1(VALU_DEP_2)
	v_sub_nc_u32_e32 v6, v11, v6
	v_add_nc_u32_e32 v11, 1, v15
	v_cmp_gt_i32_e64 s44, s59, v6
	s_wait_alu 0xf1ff
	s_delay_alu instid0(VALU_DEP_2) | instskip(SKIP_3) | instid1(VALU_DEP_1)
	v_cndmask_b32_e64 v11, v15, v11, s0
	v_add_nc_u32_e32 v15, 1, v13
	v_cmp_le_u32_e64 s0, s93, v14
	s_wait_alu 0xf1ff
	v_cndmask_b32_e64 v12, v14, v12, s0
	v_ashrrev_i32_e32 v14, 31, v9
	v_cndmask_b32_e64 v13, v13, v15, s0
	v_mul_lo_u32 v15, v5, s50
	s_delay_alu instid0(VALU_DEP_3) | instskip(NEXT) | instid1(VALU_DEP_3)
	v_xor_b32_e32 v14, s101, v14
	v_add_nc_u32_e32 v16, 1, v13
	s_delay_alu instid0(VALU_DEP_3) | instskip(SKIP_1) | instid1(VALU_DEP_4)
	v_cmp_eq_u32_e64 s0, v15, v7
	v_subrev_nc_u32_e32 v15, s1, v10
	v_xor_b32_e32 v11, v11, v14
	v_cmp_le_u32_e64 s1, s93, v12
	s_delay_alu instid0(VALU_DEP_3) | instskip(NEXT) | instid1(VALU_DEP_3)
	v_sub_nc_u32_e32 v12, 0, v15
	v_sub_nc_u32_e32 v7, v11, v14
	v_mul_lo_u32 v11, v6, s50
	v_ashrrev_i32_e32 v14, 31, v10
	s_wait_alu 0xf1ff
	v_cndmask_b32_e64 v13, v13, v16, s1
	v_max_i32_e32 v12, v15, v12
	v_cmp_gt_i32_e64 s37, s58, v7
	v_xor_b32_e32 v14, s101, v14
	v_cmp_eq_u32_e64 s1, v11, v8
	s_delay_alu instid0(VALU_DEP_4)
	v_mul_hi_u32 v11, v12, s102
	s_and_b32 s95, s42, s37
	v_xor_b32_e32 v8, v13, v14
	v_mul_lo_u32 v13, v7, s49
	s_and_b32 s96, s43, s37
	s_and_b32 s97, s44, s37
	s_delay_alu instid0(VALU_DEP_2) | instskip(NEXT) | instid1(VALU_DEP_4)
	v_sub_nc_u32_e32 v8, v8, v14
	v_mul_lo_u32 v14, v11, s93
	s_delay_alu instid0(VALU_DEP_3) | instskip(NEXT) | instid1(VALU_DEP_3)
	v_cmp_eq_u32_e64 s2, v13, v9
	v_mul_lo_u32 v9, v8, s49
	v_add_nc_u32_e32 v13, s51, v62
	v_cmp_gt_i32_e64 s38, s58, v8
	v_sub_nc_u32_e32 v12, v12, v14
	v_add_nc_u32_e32 v14, 1, v11
	s_and_b32 s89, s42, s38
	v_cmp_eq_u32_e64 s8, v9, v10
	s_delay_alu instid0(VALU_DEP_3)
	v_subrev_nc_u32_e32 v9, s93, v12
	v_subrev_nc_u32_e32 v10, s54, v13
	v_cmp_le_u32_e64 s3, s93, v12
	s_and_b32 s90, s43, s38
	s_and_b32 s91, s44, s38
	v_cndmask_b32_e64 v9, v12, v9, s3
	v_sub_nc_u32_e32 v12, 0, v10
	v_cndmask_b32_e64 v11, v11, v14, s3
	s_delay_alu instid0(VALU_DEP_3) | instskip(NEXT) | instid1(VALU_DEP_3)
	v_cmp_le_u32_e64 s3, s93, v9
	v_max_i32_e32 v12, v10, v12
	s_delay_alu instid0(VALU_DEP_3) | instskip(NEXT) | instid1(VALU_DEP_2)
	v_add_nc_u32_e32 v14, 1, v11
	v_mul_hi_u32 v16, v12, s100
	s_wait_alu 0xf1ff
	s_delay_alu instid0(VALU_DEP_2) | instskip(NEXT) | instid1(VALU_DEP_2)
	v_cndmask_b32_e64 v9, v11, v14, s3
	v_mul_lo_u32 v11, v16, s92
	s_delay_alu instid0(VALU_DEP_1) | instskip(SKIP_1) | instid1(VALU_DEP_2)
	v_sub_nc_u32_e32 v11, v12, v11
	v_ashrrev_i32_e32 v12, 31, v15
	v_cmp_le_u32_e64 s3, s92, v11
	s_delay_alu instid0(VALU_DEP_2) | instskip(NEXT) | instid1(VALU_DEP_1)
	v_xor_b32_e32 v12, s101, v12
	v_xor_b32_e32 v9, v9, v12
	s_delay_alu instid0(VALU_DEP_1) | instskip(SKIP_1) | instid1(VALU_DEP_2)
	v_sub_nc_u32_e32 v9, v9, v12
	v_subrev_nc_u32_e32 v12, s92, v11
	v_mul_lo_u32 v14, v9, s49
	s_wait_alu 0xf1ff
	s_delay_alu instid0(VALU_DEP_2) | instskip(SKIP_2) | instid1(VALU_DEP_2)
	v_cndmask_b32_e64 v11, v11, v12, s3
	v_add_nc_u32_e32 v12, 1, v16
	v_cmp_gt_i32_e64 s36, s58, v9
	v_cndmask_b32_e64 v12, v16, v12, s3
	v_cmp_eq_u32_e64 s6, v14, v15
	v_sub_nc_u32_e32 v15, 0, v13
	v_cmp_le_u32_e64 s3, s92, v11
	v_ashrrev_i32_e32 v11, 31, v10
	v_add_nc_u32_e32 v14, 1, v12
	s_and_b32 s98, s42, s36
	v_max_i32_e32 v15, v13, v15
	s_and_b32 s66, s43, s36
	v_xor_b32_e32 v11, s99, v11
	s_wait_alu 0xf1ff
	v_cndmask_b32_e64 v12, v12, v14, s3
	s_and_b32 s67, s44, s36
	v_mul_hi_u32 v14, v15, s100
	s_delay_alu instid0(VALU_DEP_2) | instskip(NEXT) | instid1(VALU_DEP_1)
	v_xor_b32_e32 v12, v12, v11
	v_sub_nc_u32_e32 v12, v12, v11
	s_delay_alu instid0(VALU_DEP_3) | instskip(NEXT) | instid1(VALU_DEP_2)
	v_mul_lo_u32 v11, v14, s92
	v_cmp_gt_i32_e64 s33, s57, v12
	s_delay_alu instid0(VALU_DEP_2) | instskip(SKIP_1) | instid1(VALU_DEP_2)
	v_sub_nc_u32_e32 v11, v15, v11
	v_mul_lo_u32 v15, v12, s48
	v_cmp_le_u32_e64 s3, s92, v11
	s_delay_alu instid0(VALU_DEP_2)
	v_cmp_eq_u32_e64 s20, v15, v10
	v_subrev_nc_u32_e32 v10, s92, v11
	v_subrev_nc_u32_e32 v15, s4, v13
	v_readlane_b32 s4, v125, 2
	v_readlane_b32 s5, v125, 3
	s_and_b32 s81, s20, s2
	v_cndmask_b32_e64 v10, v11, v10, s3
	v_add_nc_u32_e32 v11, 1, v14
	s_and_b32 s70, s20, s6
	s_delay_alu instid0(VALU_DEP_1) | instskip(SKIP_2) | instid1(VALU_DEP_2)
	v_cndmask_b32_e64 v11, v14, v11, s3
	v_sub_nc_u32_e32 v14, 0, v15
	v_cmp_le_u32_e64 s3, s92, v10
	v_max_i32_e32 v14, v15, v14
	s_delay_alu instid0(VALU_DEP_1) | instskip(NEXT) | instid1(VALU_DEP_1)
	v_mul_hi_u32 v16, v14, s100
	v_mul_lo_u32 v17, v16, s92
	s_delay_alu instid0(VALU_DEP_1) | instskip(SKIP_2) | instid1(VALU_DEP_1)
	v_sub_nc_u32_e32 v14, v14, v17
	v_add_nc_u32_e32 v17, 1, v11
	s_wait_alu 0xf1ff
	v_cndmask_b32_e64 v10, v11, v17, s3
	s_delay_alu instid0(VALU_DEP_3) | instskip(SKIP_2) | instid1(VALU_DEP_1)
	v_subrev_nc_u32_e32 v11, s92, v14
	v_cmp_le_u32_e64 s3, s92, v14
	s_wait_alu 0xf1ff
	v_cndmask_b32_e64 v11, v14, v11, s3
	v_add_nc_u32_e32 v14, 1, v16
	s_delay_alu instid0(VALU_DEP_1) | instskip(SKIP_1) | instid1(VALU_DEP_4)
	v_cndmask_b32_e64 v14, v16, v14, s3
	v_ashrrev_i32_e32 v16, 31, v13
	v_cmp_le_u32_e64 s3, s92, v11
	v_ashrrev_i32_e32 v11, 31, v15
	s_delay_alu instid0(VALU_DEP_3) | instskip(NEXT) | instid1(VALU_DEP_2)
	v_xor_b32_e32 v16, s99, v16
	v_xor_b32_e32 v11, s99, v11
	s_delay_alu instid0(VALU_DEP_2) | instskip(NEXT) | instid1(VALU_DEP_1)
	v_xor_b32_e32 v10, v10, v16
	v_sub_nc_u32_e32 v16, v10, v16
	v_add_nc_u32_e32 v10, 1, v14
	s_delay_alu instid0(VALU_DEP_2) | instskip(SKIP_1) | instid1(VALU_DEP_2)
	v_cmp_gt_i32_e64 s35, s57, v16
	s_wait_alu 0xf1ff
	v_cndmask_b32_e64 v10, v14, v10, s3
	s_delay_alu instid0(VALU_DEP_1) | instskip(NEXT) | instid1(VALU_DEP_1)
	v_xor_b32_e32 v10, v10, v11
	v_sub_nc_u32_e32 v14, v10, v11
	v_mul_lo_u32 v10, v16, s48
	s_delay_alu instid0(VALU_DEP_2) | instskip(NEXT) | instid1(VALU_DEP_2)
	v_cmp_gt_i32_e64 s28, s57, v14
	v_cmp_eq_u32_e64 s11, v10, v13
	v_mul_lo_u32 v10, v14, s48
	s_and_b32 s79, s11, s8
	s_delay_alu instid0(VALU_DEP_1) | instskip(SKIP_1) | instid1(VALU_DEP_1)
	v_cmp_eq_u32_e64 s27, v10, v15
	v_mul_lo_u32 v10, s72, v63
	v_ashrrev_i32_e32 v11, 31, v10
	s_delay_alu instid0(VALU_DEP_1) | instskip(NEXT) | instid1(VALU_DEP_1)
	v_lshlrev_b64_e32 v[10:11], 2, v[10:11]
	v_add_co_u32 v66, s3, s4, v10
	v_or_b32_e32 v10, v4, v8
	s_wait_alu 0xf1ff
	s_delay_alu instid0(VALU_DEP_3) | instskip(NEXT) | instid1(VALU_DEP_2)
	v_add_co_ci_u32_e64 v67, null, s5, v11, s3
	v_or_b32_e32 v11, v10, v16
	s_delay_alu instid0(VALU_DEP_1) | instskip(SKIP_3) | instid1(VALU_DEP_1)
	v_cmp_lt_i32_e64 s5, -1, v11
	v_or_b32_e32 v11, v5, v8
	s_wait_alu 0xfffe
	s_and_b32 s5, s89, s5
	v_or_b32_e32 v13, v11, v16
	s_wait_alu 0xfffe
	s_and_b32 vcc_hi, s5, s35
	s_delay_alu instid0(VALU_DEP_1) | instskip(SKIP_2) | instid1(VALU_DEP_1)
	v_cmp_lt_i32_e64 s3, -1, v13
	v_or_b32_e32 v13, v6, v8
	s_and_b32 s5, s90, s3
	v_or_b32_e32 v15, v13, v16
	s_wait_alu 0xfffe
	s_and_b32 s56, s5, s35
	s_and_b32 s3, s79, vcc_lo
	s_delay_alu instid0(VALU_DEP_1) | instskip(SKIP_2) | instid1(VALU_DEP_1)
	v_cmp_lt_i32_e64 s4, -1, v15
	v_or_b32_e32 v15, v4, v7
	s_and_b32 s5, s91, s4
	v_or_b32_e32 v17, v15, v16
	s_and_b32 s4, s79, s0
	s_wait_alu 0xfffe
	s_and_b32 s38, s5, s35
	s_and_b32 s5, s79, s1
	;; [unrolled: 1-line block ×3, first 2 shown]
	v_cmp_lt_i32_e64 s10, -1, v17
	v_or_b32_e32 v17, v5, v7
	s_and_b32 s10, s95, s10
	s_delay_alu instid0(VALU_DEP_1) | instskip(SKIP_2) | instid1(VALU_DEP_1)
	v_or_b32_e32 v18, v17, v16
	s_wait_alu 0xfffe
	s_and_b32 s83, s10, s35
	v_cmp_lt_i32_e64 s7, -1, v18
	v_or_b32_e32 v18, v6, v7
	s_and_b32 s10, s96, s7
	s_delay_alu instid0(VALU_DEP_1) | instskip(SKIP_3) | instid1(VALU_DEP_1)
	v_or_b32_e32 v19, v18, v16
	s_wait_alu 0xfffe
	s_and_b32 s84, s10, s35
	s_and_b32 s7, s79, vcc_lo
	v_cmp_lt_i32_e64 s9, -1, v19
	v_or_b32_e32 v19, v4, v9
	s_and_b32 s10, s97, s9
	s_delay_alu instid0(VALU_DEP_1)
	v_or_b32_e32 v20, v19, v16
	s_and_b32 s9, s79, s0
	s_wait_alu 0xfffe
	s_and_b32 s37, s10, s35
	s_and_b32 s10, s79, s1
	;; [unrolled: 1-line block ×3, first 2 shown]
	v_cmp_lt_i32_e64 s31, -1, v20
	v_or_b32_e32 v20, v5, v9
	s_wait_alu 0xfffe
	s_and_b32 s11, s79, vcc_lo
	s_and_b32 s6, s27, s6
	s_and_b32 s31, s98, s31
	v_or_b32_e32 v21, v20, v16
	s_and_b32 s31, s31, s35
	s_delay_alu instid0(VALU_DEP_1) | instskip(SKIP_2) | instid1(VALU_DEP_1)
	v_cmp_lt_i32_e64 s12, -1, v21
	v_or_b32_e32 v21, v6, v9
	s_and_b32 s12, s66, s12
	v_or_b32_e32 v22, v21, v16
	s_wait_alu 0xfffe
	s_and_b32 s42, s12, s35
	s_and_b32 s12, s79, s0
	s_delay_alu instid0(VALU_DEP_1) | instskip(SKIP_3) | instid1(VALU_DEP_2)
	v_cmp_lt_i32_e64 s13, -1, v22
	v_or_b32_e32 v22, v10, v12
	v_or_b32_e32 v10, v10, v14
	s_and_b32 s13, s67, s13
	v_cmp_lt_i32_e64 s16, -1, v22
	v_or_b32_e32 v22, v11, v12
	s_delay_alu instid0(VALU_DEP_3)
	v_cmp_lt_i32_e64 s23, -1, v10
	v_or_b32_e32 v10, v11, v14
	v_or_b32_e32 v11, v18, v14
	s_and_b32 s16, s89, s16
	v_cmp_lt_i32_e64 s14, -1, v22
	v_or_b32_e32 v22, v13, v12
	v_cmp_lt_i32_e64 s24, -1, v10
	v_or_b32_e32 v10, v13, v14
	v_or_b32_e32 v13, v19, v14
	v_cmp_lt_i32_e64 s34, -1, v11
	v_cmp_lt_i32_e64 s15, -1, v22
	v_or_b32_e32 v22, v15, v12
	v_cmp_lt_i32_e64 s26, -1, v10
	v_or_b32_e32 v10, v15, v14
	v_or_b32_e32 v15, v20, v14
	s_wait_alu 0xfffe
	s_and_b32 s36, s16, s33
	v_cmp_lt_i32_e64 s19, -1, v22
	v_or_b32_e32 v22, v17, v12
	v_cmp_lt_i32_e64 s29, -1, v10
	v_or_b32_e32 v10, v17, v14
	s_and_b32 s16, s90, s14
	s_and_b32 s19, s95, s19
	v_cmp_lt_i32_e64 s17, -1, v22
	v_or_b32_e32 v22, v18, v12
	v_cmp_lt_i32_e64 s30, -1, v10
	v_mul_lo_u32 v10, v16, s58
	v_or_b32_e32 v16, v21, v14
	v_mul_lo_u32 v14, v14, s58
	v_cmp_lt_i32_e64 s18, -1, v22
	v_or_b32_e32 v22, v19, v12
	s_wait_alu 0xfffe
	s_and_b32 s85, s19, s33
	s_and_b32 s19, s96, s17
	v_cmp_lt_i32_e64 s39, -1, v13
	v_add_nc_u32_e32 v17, v8, v10
	v_cmp_lt_i32_e64 s25, -1, v22
	v_or_b32_e32 v22, v20, v12
	v_add_nc_u32_e32 v18, v7, v10
	v_add_nc_u32_e32 v19, v9, v10
	;; [unrolled: 1-line block ×4, first 2 shown]
	v_cmp_lt_i32_e64 s22, -1, v22
	v_or_b32_e32 v22, v21, v12
	v_mul_lo_u32 v12, v12, s58
	v_add_nc_u32_e32 v53, v9, v14
	v_mul_lo_u32 v11, v17, s59
	v_mul_lo_u32 v17, v18, s59
	;; [unrolled: 1-line block ×6, first 2 shown]
	v_add_nc_u32_e32 v23, v8, v12
	v_add_nc_u32_e32 v29, v7, v12
	;; [unrolled: 1-line block ×3, first 2 shown]
	v_cmp_lt_i32_e64 s40, -1, v15
	v_add_nc_u32_e32 v7, v4, v11
	v_mul_lo_u32 v30, v23, s59
	v_mul_lo_u32 v36, v29, s59
	;; [unrolled: 1-line block ×3, first 2 shown]
	v_add_nc_u32_e32 v9, v5, v11
	v_add_nc_u32_e32 v11, v6, v11
	;; [unrolled: 1-line block ×7, first 2 shown]
	s_and_b32 s35, s13, s35
	v_add_nc_u32_e32 v23, v6, v24
	s_and_b32 s13, s79, s1
	s_and_b32 s79, s20, s8
	v_add_nc_u32_e32 v25, v4, v30
	s_and_b32 s43, s16, s33
	v_add_nc_u32_e32 v27, v5, v30
	;; [unrolled: 2-line block ×3, first 2 shown]
	v_add_nc_u32_e32 v31, v4, v36
	s_wait_alu 0xfffe
	s_and_b32 s80, s19, s33
	v_add_nc_u32_e32 v33, v5, v36
	s_and_b32 s19, s97, s18
	v_add_nc_u32_e32 v35, v6, v36
	;; [unrolled: 2-line block ×3, first 2 shown]
	v_add_nc_u32_e32 v39, v5, v42
	v_add_nc_u32_e32 v41, v6, v42
	s_and_b32 s23, s89, s23
	v_add_nc_u32_e32 v43, v4, v48
	v_add_nc_u32_e32 v45, v5, v48
	;; [unrolled: 1-line block ×8, first 2 shown]
	v_cmp_lt_i32_e64 s21, -1, v22
	s_and_b32 s14, s79, vcc_lo
	s_and_b32 s15, s79, s0
	s_and_b32 s44, s16, s33
	;; [unrolled: 1-line block ×3, first 2 shown]
	s_and_b32 s17, s81, vcc_lo
	s_and_b32 s18, s81, s0
	s_wait_alu 0xfffe
	s_and_b32 s79, s19, s33
	s_and_b32 s19, s81, s1
	;; [unrolled: 1-line block ×7, first 2 shown]
	v_add_nc_u32_e32 v68, v6, v58
	s_and_b32 s22, s66, s22
	s_wait_alu 0xfffe
	s_and_b32 s8, s25, vcc_lo
	s_and_b32 s90, s23, s28
	s_and_b32 s23, s25, s0
	;; [unrolled: 1-line block ×5, first 2 shown]
	v_cmp_lt_i32_e64 s41, -1, v16
	v_ashrrev_i32_e32 v8, 31, v7
	v_ashrrev_i32_e32 v10, 31, v9
	v_ashrrev_i32_e32 v12, 31, v11
	v_ashrrev_i32_e32 v14, 31, v13
	v_ashrrev_i32_e32 v16, 31, v15
	v_ashrrev_i32_e32 v18, 31, v17
	v_ashrrev_i32_e32 v20, 31, v19
	v_ashrrev_i32_e32 v22, 31, v21
	v_ashrrev_i32_e32 v24, 31, v23
	v_ashrrev_i32_e32 v26, 31, v25
	v_ashrrev_i32_e32 v28, 31, v27
	v_ashrrev_i32_e32 v30, 31, v29
	v_ashrrev_i32_e32 v32, 31, v31
	v_ashrrev_i32_e32 v34, 31, v33
	v_ashrrev_i32_e32 v36, 31, v35
	v_ashrrev_i32_e32 v38, 31, v37
	v_ashrrev_i32_e32 v40, 31, v39
	v_ashrrev_i32_e32 v42, 31, v41
	v_ashrrev_i32_e32 v44, 31, v43
	v_ashrrev_i32_e32 v46, 31, v45
	v_ashrrev_i32_e32 v48, 31, v47
	v_ashrrev_i32_e32 v50, 31, v49
	v_ashrrev_i32_e32 v52, 31, v51
	v_ashrrev_i32_e32 v54, 31, v53
	v_ashrrev_i32_e32 v56, 31, v55
	v_ashrrev_i32_e32 v58, 31, v57
	s_and_b32 s82, s22, s33
	s_and_b32 s22, s67, s21
	;; [unrolled: 1-line block ×3, first 2 shown]
	s_wait_alu 0xfffe
	s_and_b32 s29, s25, s28
	s_and_b32 s25, s96, s30
	v_ashrrev_i32_e32 v69, 31, v68
	s_and_b32 s20, s70, vcc_lo
	s_and_b32 s21, s70, s0
	s_and_b32 s33, s22, s33
	;; [unrolled: 1-line block ×3, first 2 shown]
	s_and_b32 s2, s26, vcc_lo
	s_wait_alu 0xfffe
	s_and_b32 s30, s25, s28
	s_and_b32 s25, s26, s0
	;; [unrolled: 1-line block ×3, first 2 shown]
	s_and_b32 vcc_lo, s6, vcc_lo
	s_and_b32 s0, s6, s0
	s_and_b32 s1, s6, s1
	s_mul_i32 s6, s73, s68
	v_lshlrev_b64_e32 v[4:5], 2, v[7:8]
	v_lshlrev_b64_e32 v[6:7], 2, v[9:10]
	v_lshlrev_b64_e32 v[8:9], 2, v[11:12]
	v_lshlrev_b64_e32 v[10:11], 2, v[13:14]
	v_lshlrev_b64_e32 v[12:13], 2, v[15:16]
	v_lshlrev_b64_e32 v[14:15], 2, v[17:18]
	v_lshlrev_b64_e32 v[16:17], 2, v[19:20]
	v_lshlrev_b64_e32 v[18:19], 2, v[21:22]
	v_lshlrev_b64_e32 v[20:21], 2, v[23:24]
	v_lshlrev_b64_e32 v[22:23], 2, v[25:26]
	v_lshlrev_b64_e32 v[24:25], 2, v[27:28]
	v_lshlrev_b64_e32 v[26:27], 2, v[29:30]
	v_lshlrev_b64_e32 v[28:29], 2, v[31:32]
	v_lshlrev_b64_e32 v[30:31], 2, v[33:34]
	v_lshlrev_b64_e32 v[32:33], 2, v[35:36]
	v_lshlrev_b64_e32 v[34:35], 2, v[37:38]
	v_lshlrev_b64_e32 v[36:37], 2, v[39:40]
	v_lshlrev_b64_e32 v[38:39], 2, v[41:42]
	v_lshlrev_b64_e32 v[40:41], 2, v[43:44]
	v_lshlrev_b64_e32 v[42:43], 2, v[45:46]
	v_lshlrev_b64_e32 v[44:45], 2, v[47:48]
	v_lshlrev_b64_e32 v[46:47], 2, v[49:50]
	v_lshlrev_b64_e32 v[48:49], 2, v[51:52]
	v_lshlrev_b64_e32 v[50:51], 2, v[53:54]
	v_lshlrev_b64_e32 v[52:53], 2, v[55:56]
	v_lshlrev_b64_e32 v[54:55], 2, v[57:58]
	s_wait_alu 0xfffe
	v_mul_lo_u32 v58, s6, v64
	s_and_b32 s27, s66, s40
	v_lshlrev_b64_e32 v[56:57], 2, v[68:69]
	v_dual_mov_b32 v68, 0 :: v_dual_add_nc_u32 v69, s68, v65
	s_and_b32 s34, s97, s34
	s_and_b32 s70, s98, s39
	s_wait_alu 0xfffe
	s_and_b32 s40, s27, s28
	s_and_b32 s27, s67, s41
	s_and_b32 s34, s34, s28
	s_mov_b32 s39, 0
	s_and_b32 s95, s70, s28
	s_wait_alu 0xfffe
	s_and_b32 s28, s27, s28
	s_branch .LBB20_7
.LBB20_6:                               ;   in Loop: Header=BB20_7 Depth=2
	s_wait_alu 0xfffe
	s_or_b32 exec_lo, exec_lo, s27
	s_wait_loadcnt 0x1a
	v_fma_f32 v59, v70, v59, v68
	v_add_nc_u32_e32 v65, 1, v65
	v_add_co_u32 v2, s27, 0x6c, v2
	s_wait_alu 0xf1ff
	v_add_co_ci_u32_e64 v3, null, 0, v3, s27
	v_cndmask_b32_e64 v59, v68, v59, s3
	v_cmp_ge_i32_e64 s6, v65, v69
	v_add_nc_u32_e32 v58, s73, v58
	s_wait_loadcnt 0x19
	s_delay_alu instid0(VALU_DEP_3) | instskip(SKIP_1) | instid1(VALU_DEP_1)
	v_fma_f32 v68, v73, v75, v59
	s_or_b32 s39, s6, s39
	v_cndmask_b32_e64 v59, v59, v68, s4
	s_wait_loadcnt 0x18
	s_delay_alu instid0(VALU_DEP_1) | instskip(NEXT) | instid1(VALU_DEP_1)
	v_fma_f32 v68, v76, v74, v59
	v_cndmask_b32_e64 v59, v59, v68, s5
	s_wait_loadcnt 0x17
	s_delay_alu instid0(VALU_DEP_1) | instskip(NEXT) | instid1(VALU_DEP_1)
	v_fma_f32 v68, v77, v79, v59
	;; [unrolled: 4-line block ×23, first 2 shown]
	v_cndmask_b32_e32 v59, v59, v68, vcc_lo
	s_wait_loadcnt 0x1
	s_delay_alu instid0(VALU_DEP_1) | instskip(NEXT) | instid1(VALU_DEP_1)
	v_fma_f32 v68, v122, v124, v59
	v_cndmask_b32_e64 v59, v59, v68, s0
	s_wait_loadcnt 0x0
	s_delay_alu instid0(VALU_DEP_1) | instskip(NEXT) | instid1(VALU_DEP_1)
	v_fma_f32 v68, v123, v121, v59
	v_cndmask_b32_e64 v68, v59, v68, s1
	s_and_not1_b32 exec_lo, exec_lo, s39
	s_cbranch_execz .LBB20_2
.LBB20_7:                               ;   Parent Loop BB20_4 Depth=1
                                        ; =>  This Inner Loop Header: Depth=2
	global_load_b32 v70, v[2:3], off
	v_ashrrev_i32_e32 v59, 31, v58
	s_delay_alu instid0(VALU_DEP_1) | instskip(SKIP_1) | instid1(VALU_DEP_2)
	v_lshlrev_b64_e32 v[71:72], 2, v[58:59]
	v_mov_b32_e32 v59, 0
	v_add_co_u32 v71, s6, v66, v71
	s_wait_alu 0xf1ff
	s_delay_alu instid0(VALU_DEP_3)
	v_add_co_ci_u32_e64 v72, null, v67, v72, s6
	s_and_saveexec_b32 s27, vcc_hi
	s_cbranch_execz .LBB20_9
; %bb.8:                                ;   in Loop: Header=BB20_7 Depth=2
	v_add_co_u32 v73, s6, v71, v4
	s_wait_alu 0xf1ff
	v_add_co_ci_u32_e64 v74, null, v72, v5, s6
	global_load_b32 v59, v[73:74], off
.LBB20_9:                               ;   in Loop: Header=BB20_7 Depth=2
	s_wait_alu 0xfffe
	s_or_b32 exec_lo, exec_lo, s27
	global_load_b32 v73, v[2:3], off offset:4
	v_dual_mov_b32 v74, 0 :: v_dual_mov_b32 v75, 0
	s_and_saveexec_b32 s27, s56
	s_cbranch_execz .LBB20_11
; %bb.10:                               ;   in Loop: Header=BB20_7 Depth=2
	v_add_co_u32 v75, s6, v71, v6
	s_wait_alu 0xf1ff
	v_add_co_ci_u32_e64 v76, null, v72, v7, s6
	global_load_b32 v75, v[75:76], off
.LBB20_11:                              ;   in Loop: Header=BB20_7 Depth=2
	s_wait_alu 0xfffe
	s_or_b32 exec_lo, exec_lo, s27
	global_load_b32 v76, v[2:3], off offset:8
	s_and_saveexec_b32 s27, s38
	s_cbranch_execz .LBB20_13
; %bb.12:                               ;   in Loop: Header=BB20_7 Depth=2
	v_add_co_u32 v77, s6, v71, v8
	s_wait_alu 0xf1ff
	v_add_co_ci_u32_e64 v78, null, v72, v9, s6
	global_load_b32 v74, v[77:78], off
.LBB20_13:                              ;   in Loop: Header=BB20_7 Depth=2
	s_wait_alu 0xfffe
	s_or_b32 exec_lo, exec_lo, s27
	global_load_b32 v77, v[2:3], off offset:12
	v_dual_mov_b32 v78, 0 :: v_dual_mov_b32 v79, 0
	s_and_saveexec_b32 s27, s83
	s_cbranch_execz .LBB20_15
; %bb.14:                               ;   in Loop: Header=BB20_7 Depth=2
	v_add_co_u32 v79, s6, v71, v10
	s_wait_alu 0xf1ff
	v_add_co_ci_u32_e64 v80, null, v72, v11, s6
	global_load_b32 v79, v[79:80], off
.LBB20_15:                              ;   in Loop: Header=BB20_7 Depth=2
	s_wait_alu 0xfffe
	s_or_b32 exec_lo, exec_lo, s27
	global_load_b32 v80, v[2:3], off offset:16
	s_and_saveexec_b32 s27, s84
	s_cbranch_execz .LBB20_17
; %bb.16:                               ;   in Loop: Header=BB20_7 Depth=2
	v_add_co_u32 v81, s6, v71, v12
	s_wait_alu 0xf1ff
	v_add_co_ci_u32_e64 v82, null, v72, v13, s6
	global_load_b32 v78, v[81:82], off
.LBB20_17:                              ;   in Loop: Header=BB20_7 Depth=2
	s_wait_alu 0xfffe
	s_or_b32 exec_lo, exec_lo, s27
	global_load_b32 v81, v[2:3], off offset:20
	v_dual_mov_b32 v82, 0 :: v_dual_mov_b32 v83, 0
	s_and_saveexec_b32 s27, s37
	s_cbranch_execz .LBB20_19
; %bb.18:                               ;   in Loop: Header=BB20_7 Depth=2
	v_add_co_u32 v83, s6, v71, v14
	s_wait_alu 0xf1ff
	v_add_co_ci_u32_e64 v84, null, v72, v15, s6
	global_load_b32 v83, v[83:84], off
.LBB20_19:                              ;   in Loop: Header=BB20_7 Depth=2
	s_wait_alu 0xfffe
	s_or_b32 exec_lo, exec_lo, s27
	global_load_b32 v84, v[2:3], off offset:24
	s_and_saveexec_b32 s27, s31
	s_cbranch_execz .LBB20_21
; %bb.20:                               ;   in Loop: Header=BB20_7 Depth=2
	v_add_co_u32 v85, s6, v71, v16
	s_wait_alu 0xf1ff
	v_add_co_ci_u32_e64 v86, null, v72, v17, s6
	global_load_b32 v82, v[85:86], off
.LBB20_21:                              ;   in Loop: Header=BB20_7 Depth=2
	s_wait_alu 0xfffe
	s_or_b32 exec_lo, exec_lo, s27
	global_load_b32 v85, v[2:3], off offset:28
	v_dual_mov_b32 v86, 0 :: v_dual_mov_b32 v87, 0
	s_and_saveexec_b32 s27, s42
	s_cbranch_execz .LBB20_23
; %bb.22:                               ;   in Loop: Header=BB20_7 Depth=2
	v_add_co_u32 v87, s6, v71, v18
	s_wait_alu 0xf1ff
	v_add_co_ci_u32_e64 v88, null, v72, v19, s6
	global_load_b32 v87, v[87:88], off
.LBB20_23:                              ;   in Loop: Header=BB20_7 Depth=2
	s_wait_alu 0xfffe
	s_or_b32 exec_lo, exec_lo, s27
	global_load_b32 v88, v[2:3], off offset:32
	s_and_saveexec_b32 s27, s35
	s_cbranch_execz .LBB20_25
; %bb.24:                               ;   in Loop: Header=BB20_7 Depth=2
	v_add_co_u32 v89, s6, v71, v20
	s_wait_alu 0xf1ff
	v_add_co_ci_u32_e64 v90, null, v72, v21, s6
	global_load_b32 v86, v[89:90], off
.LBB20_25:                              ;   in Loop: Header=BB20_7 Depth=2
	s_wait_alu 0xfffe
	s_or_b32 exec_lo, exec_lo, s27
	global_load_b32 v89, v[2:3], off offset:36
	v_dual_mov_b32 v90, 0 :: v_dual_mov_b32 v91, 0
	s_and_saveexec_b32 s27, s36
	s_cbranch_execz .LBB20_27
; %bb.26:                               ;   in Loop: Header=BB20_7 Depth=2
	v_add_co_u32 v91, s6, v71, v22
	s_wait_alu 0xf1ff
	v_add_co_ci_u32_e64 v92, null, v72, v23, s6
	global_load_b32 v91, v[91:92], off
.LBB20_27:                              ;   in Loop: Header=BB20_7 Depth=2
	s_wait_alu 0xfffe
	s_or_b32 exec_lo, exec_lo, s27
	global_load_b32 v92, v[2:3], off offset:40
	s_and_saveexec_b32 s27, s43
	s_cbranch_execz .LBB20_29
; %bb.28:                               ;   in Loop: Header=BB20_7 Depth=2
	v_add_co_u32 v93, s6, v71, v24
	s_wait_alu 0xf1ff
	v_add_co_ci_u32_e64 v94, null, v72, v25, s6
	global_load_b32 v90, v[93:94], off
.LBB20_29:                              ;   in Loop: Header=BB20_7 Depth=2
	s_wait_alu 0xfffe
	s_or_b32 exec_lo, exec_lo, s27
	global_load_b32 v93, v[2:3], off offset:44
	v_dual_mov_b32 v94, 0 :: v_dual_mov_b32 v95, 0
	s_and_saveexec_b32 s27, s44
	s_cbranch_execz .LBB20_31
; %bb.30:                               ;   in Loop: Header=BB20_7 Depth=2
	v_add_co_u32 v95, s6, v71, v26
	s_wait_alu 0xf1ff
	v_add_co_ci_u32_e64 v96, null, v72, v27, s6
	global_load_b32 v95, v[95:96], off
.LBB20_31:                              ;   in Loop: Header=BB20_7 Depth=2
	s_wait_alu 0xfffe
	s_or_b32 exec_lo, exec_lo, s27
	global_load_b32 v96, v[2:3], off offset:48
	s_and_saveexec_b32 s27, s85
	s_cbranch_execz .LBB20_33
; %bb.32:                               ;   in Loop: Header=BB20_7 Depth=2
	v_add_co_u32 v97, s6, v71, v28
	s_wait_alu 0xf1ff
	v_add_co_ci_u32_e64 v98, null, v72, v29, s6
	global_load_b32 v94, v[97:98], off
.LBB20_33:                              ;   in Loop: Header=BB20_7 Depth=2
	s_wait_alu 0xfffe
	s_or_b32 exec_lo, exec_lo, s27
	global_load_b32 v97, v[2:3], off offset:52
	v_dual_mov_b32 v98, 0 :: v_dual_mov_b32 v99, 0
	s_and_saveexec_b32 s27, s80
	s_cbranch_execz .LBB20_35
; %bb.34:                               ;   in Loop: Header=BB20_7 Depth=2
	v_add_co_u32 v99, s6, v71, v30
	s_wait_alu 0xf1ff
	v_add_co_ci_u32_e64 v100, null, v72, v31, s6
	global_load_b32 v99, v[99:100], off
.LBB20_35:                              ;   in Loop: Header=BB20_7 Depth=2
	s_wait_alu 0xfffe
	s_or_b32 exec_lo, exec_lo, s27
	global_load_b32 v100, v[2:3], off offset:56
	s_and_saveexec_b32 s27, s79
	s_cbranch_execz .LBB20_37
; %bb.36:                               ;   in Loop: Header=BB20_7 Depth=2
	v_add_co_u32 v101, s6, v71, v32
	s_wait_alu 0xf1ff
	v_add_co_ci_u32_e64 v102, null, v72, v33, s6
	global_load_b32 v98, v[101:102], off
.LBB20_37:                              ;   in Loop: Header=BB20_7 Depth=2
	s_wait_alu 0xfffe
	s_or_b32 exec_lo, exec_lo, s27
	global_load_b32 v101, v[2:3], off offset:60
	v_dual_mov_b32 v102, 0 :: v_dual_mov_b32 v103, 0
	s_and_saveexec_b32 s27, s81
	s_cbranch_execz .LBB20_39
; %bb.38:                               ;   in Loop: Header=BB20_7 Depth=2
	v_add_co_u32 v103, s6, v71, v34
	s_wait_alu 0xf1ff
	v_add_co_ci_u32_e64 v104, null, v72, v35, s6
	global_load_b32 v103, v[103:104], off
.LBB20_39:                              ;   in Loop: Header=BB20_7 Depth=2
	s_wait_alu 0xfffe
	s_or_b32 exec_lo, exec_lo, s27
	global_load_b32 v104, v[2:3], off offset:64
	s_and_saveexec_b32 s27, s82
	s_cbranch_execz .LBB20_41
; %bb.40:                               ;   in Loop: Header=BB20_7 Depth=2
	v_add_co_u32 v105, s6, v71, v36
	s_wait_alu 0xf1ff
	v_add_co_ci_u32_e64 v106, null, v72, v37, s6
	global_load_b32 v102, v[105:106], off
.LBB20_41:                              ;   in Loop: Header=BB20_7 Depth=2
	s_wait_alu 0xfffe
	s_or_b32 exec_lo, exec_lo, s27
	global_load_b32 v105, v[2:3], off offset:68
	v_dual_mov_b32 v106, 0 :: v_dual_mov_b32 v107, 0
	s_and_saveexec_b32 s27, s33
	s_cbranch_execz .LBB20_43
; %bb.42:                               ;   in Loop: Header=BB20_7 Depth=2
	v_add_co_u32 v107, s6, v71, v38
	s_wait_alu 0xf1ff
	v_add_co_ci_u32_e64 v108, null, v72, v39, s6
	global_load_b32 v107, v[107:108], off
.LBB20_43:                              ;   in Loop: Header=BB20_7 Depth=2
	s_wait_alu 0xfffe
	s_or_b32 exec_lo, exec_lo, s27
	global_load_b32 v108, v[2:3], off offset:72
	s_and_saveexec_b32 s27, s89
	s_cbranch_execz .LBB20_45
; %bb.44:                               ;   in Loop: Header=BB20_7 Depth=2
	v_add_co_u32 v109, s6, v71, v40
	s_wait_alu 0xf1ff
	v_add_co_ci_u32_e64 v110, null, v72, v41, s6
	global_load_b32 v106, v[109:110], off
.LBB20_45:                              ;   in Loop: Header=BB20_7 Depth=2
	s_wait_alu 0xfffe
	s_or_b32 exec_lo, exec_lo, s27
	global_load_b32 v109, v[2:3], off offset:76
	v_dual_mov_b32 v110, 0 :: v_dual_mov_b32 v111, 0
	s_and_saveexec_b32 s27, s90
	s_cbranch_execz .LBB20_47
; %bb.46:                               ;   in Loop: Header=BB20_7 Depth=2
	v_add_co_u32 v111, s6, v71, v42
	s_wait_alu 0xf1ff
	v_add_co_ci_u32_e64 v112, null, v72, v43, s6
	global_load_b32 v111, v[111:112], off
.LBB20_47:                              ;   in Loop: Header=BB20_7 Depth=2
	s_wait_alu 0xfffe
	s_or_b32 exec_lo, exec_lo, s27
	global_load_b32 v112, v[2:3], off offset:80
	s_and_saveexec_b32 s27, s91
	s_cbranch_execz .LBB20_49
; %bb.48:                               ;   in Loop: Header=BB20_7 Depth=2
	v_add_co_u32 v113, s6, v71, v44
	s_wait_alu 0xf1ff
	v_add_co_ci_u32_e64 v114, null, v72, v45, s6
	global_load_b32 v110, v[113:114], off
.LBB20_49:                              ;   in Loop: Header=BB20_7 Depth=2
	s_wait_alu 0xfffe
	s_or_b32 exec_lo, exec_lo, s27
	global_load_b32 v113, v[2:3], off offset:84
	v_dual_mov_b32 v114, 0 :: v_dual_mov_b32 v115, 0
	s_and_saveexec_b32 s27, s29
	s_cbranch_execz .LBB20_51
; %bb.50:                               ;   in Loop: Header=BB20_7 Depth=2
	v_add_co_u32 v115, s6, v71, v46
	s_wait_alu 0xf1ff
	v_add_co_ci_u32_e64 v116, null, v72, v47, s6
	global_load_b32 v115, v[115:116], off
.LBB20_51:                              ;   in Loop: Header=BB20_7 Depth=2
	s_wait_alu 0xfffe
	s_or_b32 exec_lo, exec_lo, s27
	global_load_b32 v116, v[2:3], off offset:88
	s_and_saveexec_b32 s27, s30
	s_cbranch_execz .LBB20_53
; %bb.52:                               ;   in Loop: Header=BB20_7 Depth=2
	v_add_co_u32 v117, s6, v71, v48
	s_wait_alu 0xf1ff
	v_add_co_ci_u32_e64 v118, null, v72, v49, s6
	global_load_b32 v114, v[117:118], off
.LBB20_53:                              ;   in Loop: Header=BB20_7 Depth=2
	s_wait_alu 0xfffe
	s_or_b32 exec_lo, exec_lo, s27
	global_load_b32 v117, v[2:3], off offset:92
	v_dual_mov_b32 v118, 0 :: v_dual_mov_b32 v119, 0
	s_and_saveexec_b32 s27, s34
	s_cbranch_execz .LBB20_55
; %bb.54:                               ;   in Loop: Header=BB20_7 Depth=2
	v_add_co_u32 v119, s6, v71, v50
	s_wait_alu 0xf1ff
	v_add_co_ci_u32_e64 v120, null, v72, v51, s6
	global_load_b32 v119, v[119:120], off
.LBB20_55:                              ;   in Loop: Header=BB20_7 Depth=2
	s_wait_alu 0xfffe
	s_or_b32 exec_lo, exec_lo, s27
	global_load_b32 v120, v[2:3], off offset:96
	s_and_saveexec_b32 s27, s95
	s_cbranch_execz .LBB20_57
; %bb.56:                               ;   in Loop: Header=BB20_7 Depth=2
	v_add_co_u32 v121, s6, v71, v52
	s_wait_alu 0xf1ff
	v_add_co_ci_u32_e64 v122, null, v72, v53, s6
	global_load_b32 v118, v[121:122], off
.LBB20_57:                              ;   in Loop: Header=BB20_7 Depth=2
	s_wait_alu 0xfffe
	s_or_b32 exec_lo, exec_lo, s27
	global_load_b32 v122, v[2:3], off offset:100
	v_dual_mov_b32 v121, 0 :: v_dual_mov_b32 v124, 0
	s_and_saveexec_b32 s27, s40
	s_cbranch_execz .LBB20_59
; %bb.58:                               ;   in Loop: Header=BB20_7 Depth=2
	v_add_co_u32 v123, s6, v71, v54
	s_wait_alu 0xf1ff
	v_add_co_ci_u32_e64 v124, null, v72, v55, s6
	global_load_b32 v124, v[123:124], off
.LBB20_59:                              ;   in Loop: Header=BB20_7 Depth=2
	s_wait_alu 0xfffe
	s_or_b32 exec_lo, exec_lo, s27
	global_load_b32 v123, v[2:3], off offset:104
	s_and_saveexec_b32 s27, s28
	s_cbranch_execz .LBB20_6
; %bb.60:                               ;   in Loop: Header=BB20_7 Depth=2
	v_add_co_u32 v71, s6, v71, v56
	s_wait_alu 0xf1ff
	v_add_co_ci_u32_e64 v72, null, v72, v57, s6
	global_load_b32 v121, v[71:72], off
	s_branch .LBB20_6
.LBB20_61:                              ;   in Loop: Header=BB20_4 Depth=1
	v_mov_b32_e32 v68, 0
	s_branch .LBB20_3
.LBB20_62:
	s_nop 0
	s_sendmsg sendmsg(MSG_DEALLOC_VGPRS)
	s_endpgm
	.section	.rodata,"a",@progbits
	.p2align	6, 0x0
	.amdhsa_kernel _ZN2at6native12_GLOBAL__N_143conv_depthwise3d_cuda_backward_input_kernelIffLi3ELi3ELi3ELin1ELin1ELin1ELin1ELin1ELin1EEEvN5torch10headeronly6detail27GenericPackedTensorAccessorINS5_14TensorAccessorIN3c108ArrayRefIlEEKT_Lm4ENS4_16DefaultPtrTraitsEiEENS_6detail16IndexBoundsCheckILm5EiEESC_Lm5ESD_iEENS6_INS7_ISA_SB_Lm4ESD_iEESH_SB_Lm5ESD_iEESI_iiiiiiiii
		.amdhsa_group_segment_fixed_size 0
		.amdhsa_private_segment_fixed_size 0
		.amdhsa_kernarg_size 440
		.amdhsa_user_sgpr_count 2
		.amdhsa_user_sgpr_dispatch_ptr 0
		.amdhsa_user_sgpr_queue_ptr 0
		.amdhsa_user_sgpr_kernarg_segment_ptr 1
		.amdhsa_user_sgpr_dispatch_id 0
		.amdhsa_user_sgpr_private_segment_size 0
		.amdhsa_wavefront_size32 1
		.amdhsa_uses_dynamic_stack 0
		.amdhsa_enable_private_segment 0
		.amdhsa_system_sgpr_workgroup_id_x 1
		.amdhsa_system_sgpr_workgroup_id_y 0
		.amdhsa_system_sgpr_workgroup_id_z 0
		.amdhsa_system_sgpr_workgroup_info 0
		.amdhsa_system_vgpr_workitem_id 0
		.amdhsa_next_free_vgpr 126
		.amdhsa_next_free_sgpr 105
		.amdhsa_reserve_vcc 1
		.amdhsa_float_round_mode_32 0
		.amdhsa_float_round_mode_16_64 0
		.amdhsa_float_denorm_mode_32 3
		.amdhsa_float_denorm_mode_16_64 3
		.amdhsa_fp16_overflow 0
		.amdhsa_workgroup_processor_mode 1
		.amdhsa_memory_ordered 1
		.amdhsa_forward_progress 1
		.amdhsa_inst_pref_size 56
		.amdhsa_round_robin_scheduling 0
		.amdhsa_exception_fp_ieee_invalid_op 0
		.amdhsa_exception_fp_denorm_src 0
		.amdhsa_exception_fp_ieee_div_zero 0
		.amdhsa_exception_fp_ieee_overflow 0
		.amdhsa_exception_fp_ieee_underflow 0
		.amdhsa_exception_fp_ieee_inexact 0
		.amdhsa_exception_int_div_zero 0
	.end_amdhsa_kernel
	.section	.text._ZN2at6native12_GLOBAL__N_143conv_depthwise3d_cuda_backward_input_kernelIffLi3ELi3ELi3ELin1ELin1ELin1ELin1ELin1ELin1EEEvN5torch10headeronly6detail27GenericPackedTensorAccessorINS5_14TensorAccessorIN3c108ArrayRefIlEEKT_Lm4ENS4_16DefaultPtrTraitsEiEENS_6detail16IndexBoundsCheckILm5EiEESC_Lm5ESD_iEENS6_INS7_ISA_SB_Lm4ESD_iEESH_SB_Lm5ESD_iEESI_iiiiiiiii,"axG",@progbits,_ZN2at6native12_GLOBAL__N_143conv_depthwise3d_cuda_backward_input_kernelIffLi3ELi3ELi3ELin1ELin1ELin1ELin1ELin1ELin1EEEvN5torch10headeronly6detail27GenericPackedTensorAccessorINS5_14TensorAccessorIN3c108ArrayRefIlEEKT_Lm4ENS4_16DefaultPtrTraitsEiEENS_6detail16IndexBoundsCheckILm5EiEESC_Lm5ESD_iEENS6_INS7_ISA_SB_Lm4ESD_iEESH_SB_Lm5ESD_iEESI_iiiiiiiii,comdat
.Lfunc_end20:
	.size	_ZN2at6native12_GLOBAL__N_143conv_depthwise3d_cuda_backward_input_kernelIffLi3ELi3ELi3ELin1ELin1ELin1ELin1ELin1ELin1EEEvN5torch10headeronly6detail27GenericPackedTensorAccessorINS5_14TensorAccessorIN3c108ArrayRefIlEEKT_Lm4ENS4_16DefaultPtrTraitsEiEENS_6detail16IndexBoundsCheckILm5EiEESC_Lm5ESD_iEENS6_INS7_ISA_SB_Lm4ESD_iEESH_SB_Lm5ESD_iEESI_iiiiiiiii, .Lfunc_end20-_ZN2at6native12_GLOBAL__N_143conv_depthwise3d_cuda_backward_input_kernelIffLi3ELi3ELi3ELin1ELin1ELin1ELin1ELin1ELin1EEEvN5torch10headeronly6detail27GenericPackedTensorAccessorINS5_14TensorAccessorIN3c108ArrayRefIlEEKT_Lm4ENS4_16DefaultPtrTraitsEiEENS_6detail16IndexBoundsCheckILm5EiEESC_Lm5ESD_iEENS6_INS7_ISA_SB_Lm4ESD_iEESH_SB_Lm5ESD_iEESI_iiiiiiiii
                                        ; -- End function
	.set _ZN2at6native12_GLOBAL__N_143conv_depthwise3d_cuda_backward_input_kernelIffLi3ELi3ELi3ELin1ELin1ELin1ELin1ELin1ELin1EEEvN5torch10headeronly6detail27GenericPackedTensorAccessorINS5_14TensorAccessorIN3c108ArrayRefIlEEKT_Lm4ENS4_16DefaultPtrTraitsEiEENS_6detail16IndexBoundsCheckILm5EiEESC_Lm5ESD_iEENS6_INS7_ISA_SB_Lm4ESD_iEESH_SB_Lm5ESD_iEESI_iiiiiiiii.num_vgpr, 126
	.set _ZN2at6native12_GLOBAL__N_143conv_depthwise3d_cuda_backward_input_kernelIffLi3ELi3ELi3ELin1ELin1ELin1ELin1ELin1ELin1EEEvN5torch10headeronly6detail27GenericPackedTensorAccessorINS5_14TensorAccessorIN3c108ArrayRefIlEEKT_Lm4ENS4_16DefaultPtrTraitsEiEENS_6detail16IndexBoundsCheckILm5EiEESC_Lm5ESD_iEENS6_INS7_ISA_SB_Lm4ESD_iEESH_SB_Lm5ESD_iEESI_iiiiiiiii.num_agpr, 0
	.set _ZN2at6native12_GLOBAL__N_143conv_depthwise3d_cuda_backward_input_kernelIffLi3ELi3ELi3ELin1ELin1ELin1ELin1ELin1ELin1EEEvN5torch10headeronly6detail27GenericPackedTensorAccessorINS5_14TensorAccessorIN3c108ArrayRefIlEEKT_Lm4ENS4_16DefaultPtrTraitsEiEENS_6detail16IndexBoundsCheckILm5EiEESC_Lm5ESD_iEENS6_INS7_ISA_SB_Lm4ESD_iEESH_SB_Lm5ESD_iEESI_iiiiiiiii.numbered_sgpr, 105
	.set _ZN2at6native12_GLOBAL__N_143conv_depthwise3d_cuda_backward_input_kernelIffLi3ELi3ELi3ELin1ELin1ELin1ELin1ELin1ELin1EEEvN5torch10headeronly6detail27GenericPackedTensorAccessorINS5_14TensorAccessorIN3c108ArrayRefIlEEKT_Lm4ENS4_16DefaultPtrTraitsEiEENS_6detail16IndexBoundsCheckILm5EiEESC_Lm5ESD_iEENS6_INS7_ISA_SB_Lm4ESD_iEESH_SB_Lm5ESD_iEESI_iiiiiiiii.num_named_barrier, 0
	.set _ZN2at6native12_GLOBAL__N_143conv_depthwise3d_cuda_backward_input_kernelIffLi3ELi3ELi3ELin1ELin1ELin1ELin1ELin1ELin1EEEvN5torch10headeronly6detail27GenericPackedTensorAccessorINS5_14TensorAccessorIN3c108ArrayRefIlEEKT_Lm4ENS4_16DefaultPtrTraitsEiEENS_6detail16IndexBoundsCheckILm5EiEESC_Lm5ESD_iEENS6_INS7_ISA_SB_Lm4ESD_iEESH_SB_Lm5ESD_iEESI_iiiiiiiii.private_seg_size, 0
	.set _ZN2at6native12_GLOBAL__N_143conv_depthwise3d_cuda_backward_input_kernelIffLi3ELi3ELi3ELin1ELin1ELin1ELin1ELin1ELin1EEEvN5torch10headeronly6detail27GenericPackedTensorAccessorINS5_14TensorAccessorIN3c108ArrayRefIlEEKT_Lm4ENS4_16DefaultPtrTraitsEiEENS_6detail16IndexBoundsCheckILm5EiEESC_Lm5ESD_iEENS6_INS7_ISA_SB_Lm4ESD_iEESH_SB_Lm5ESD_iEESI_iiiiiiiii.uses_vcc, 1
	.set _ZN2at6native12_GLOBAL__N_143conv_depthwise3d_cuda_backward_input_kernelIffLi3ELi3ELi3ELin1ELin1ELin1ELin1ELin1ELin1EEEvN5torch10headeronly6detail27GenericPackedTensorAccessorINS5_14TensorAccessorIN3c108ArrayRefIlEEKT_Lm4ENS4_16DefaultPtrTraitsEiEENS_6detail16IndexBoundsCheckILm5EiEESC_Lm5ESD_iEENS6_INS7_ISA_SB_Lm4ESD_iEESH_SB_Lm5ESD_iEESI_iiiiiiiii.uses_flat_scratch, 0
	.set _ZN2at6native12_GLOBAL__N_143conv_depthwise3d_cuda_backward_input_kernelIffLi3ELi3ELi3ELin1ELin1ELin1ELin1ELin1ELin1EEEvN5torch10headeronly6detail27GenericPackedTensorAccessorINS5_14TensorAccessorIN3c108ArrayRefIlEEKT_Lm4ENS4_16DefaultPtrTraitsEiEENS_6detail16IndexBoundsCheckILm5EiEESC_Lm5ESD_iEENS6_INS7_ISA_SB_Lm4ESD_iEESH_SB_Lm5ESD_iEESI_iiiiiiiii.has_dyn_sized_stack, 0
	.set _ZN2at6native12_GLOBAL__N_143conv_depthwise3d_cuda_backward_input_kernelIffLi3ELi3ELi3ELin1ELin1ELin1ELin1ELin1ELin1EEEvN5torch10headeronly6detail27GenericPackedTensorAccessorINS5_14TensorAccessorIN3c108ArrayRefIlEEKT_Lm4ENS4_16DefaultPtrTraitsEiEENS_6detail16IndexBoundsCheckILm5EiEESC_Lm5ESD_iEENS6_INS7_ISA_SB_Lm4ESD_iEESH_SB_Lm5ESD_iEESI_iiiiiiiii.has_recursion, 0
	.set _ZN2at6native12_GLOBAL__N_143conv_depthwise3d_cuda_backward_input_kernelIffLi3ELi3ELi3ELin1ELin1ELin1ELin1ELin1ELin1EEEvN5torch10headeronly6detail27GenericPackedTensorAccessorINS5_14TensorAccessorIN3c108ArrayRefIlEEKT_Lm4ENS4_16DefaultPtrTraitsEiEENS_6detail16IndexBoundsCheckILm5EiEESC_Lm5ESD_iEENS6_INS7_ISA_SB_Lm4ESD_iEESH_SB_Lm5ESD_iEESI_iiiiiiiii.has_indirect_call, 0
	.section	.AMDGPU.csdata,"",@progbits
; Kernel info:
; codeLenInByte = 7160
; TotalNumSgprs: 107
; NumVgprs: 126
; ScratchSize: 0
; MemoryBound: 0
; FloatMode: 240
; IeeeMode: 1
; LDSByteSize: 0 bytes/workgroup (compile time only)
; SGPRBlocks: 0
; VGPRBlocks: 15
; NumSGPRsForWavesPerEU: 107
; NumVGPRsForWavesPerEU: 126
; Occupancy: 10
; WaveLimiterHint : 0
; COMPUTE_PGM_RSRC2:SCRATCH_EN: 0
; COMPUTE_PGM_RSRC2:USER_SGPR: 2
; COMPUTE_PGM_RSRC2:TRAP_HANDLER: 0
; COMPUTE_PGM_RSRC2:TGID_X_EN: 1
; COMPUTE_PGM_RSRC2:TGID_Y_EN: 0
; COMPUTE_PGM_RSRC2:TGID_Z_EN: 0
; COMPUTE_PGM_RSRC2:TIDIG_COMP_CNT: 0
	.section	.text._ZN2at6native12_GLOBAL__N_143conv_depthwise3d_cuda_backward_input_kernelIffLin1ELin1ELin1ELin1ELin1ELin1ELin1ELin1ELin1EEEvN5torch10headeronly6detail27GenericPackedTensorAccessorINS5_14TensorAccessorIN3c108ArrayRefIlEEKT_Lm4ENS4_16DefaultPtrTraitsEiEENS_6detail16IndexBoundsCheckILm5EiEESC_Lm5ESD_iEENS6_INS7_ISA_SB_Lm4ESD_iEESH_SB_Lm5ESD_iEESI_iiiiiiiii,"axG",@progbits,_ZN2at6native12_GLOBAL__N_143conv_depthwise3d_cuda_backward_input_kernelIffLin1ELin1ELin1ELin1ELin1ELin1ELin1ELin1ELin1EEEvN5torch10headeronly6detail27GenericPackedTensorAccessorINS5_14TensorAccessorIN3c108ArrayRefIlEEKT_Lm4ENS4_16DefaultPtrTraitsEiEENS_6detail16IndexBoundsCheckILm5EiEESC_Lm5ESD_iEENS6_INS7_ISA_SB_Lm4ESD_iEESH_SB_Lm5ESD_iEESI_iiiiiiiii,comdat
	.globl	_ZN2at6native12_GLOBAL__N_143conv_depthwise3d_cuda_backward_input_kernelIffLin1ELin1ELin1ELin1ELin1ELin1ELin1ELin1ELin1EEEvN5torch10headeronly6detail27GenericPackedTensorAccessorINS5_14TensorAccessorIN3c108ArrayRefIlEEKT_Lm4ENS4_16DefaultPtrTraitsEiEENS_6detail16IndexBoundsCheckILm5EiEESC_Lm5ESD_iEENS6_INS7_ISA_SB_Lm4ESD_iEESH_SB_Lm5ESD_iEESI_iiiiiiiii ; -- Begin function _ZN2at6native12_GLOBAL__N_143conv_depthwise3d_cuda_backward_input_kernelIffLin1ELin1ELin1ELin1ELin1ELin1ELin1ELin1ELin1EEEvN5torch10headeronly6detail27GenericPackedTensorAccessorINS5_14TensorAccessorIN3c108ArrayRefIlEEKT_Lm4ENS4_16DefaultPtrTraitsEiEENS_6detail16IndexBoundsCheckILm5EiEESC_Lm5ESD_iEENS6_INS7_ISA_SB_Lm4ESD_iEESH_SB_Lm5ESD_iEESI_iiiiiiiii
	.p2align	8
	.type	_ZN2at6native12_GLOBAL__N_143conv_depthwise3d_cuda_backward_input_kernelIffLin1ELin1ELin1ELin1ELin1ELin1ELin1ELin1ELin1EEEvN5torch10headeronly6detail27GenericPackedTensorAccessorINS5_14TensorAccessorIN3c108ArrayRefIlEEKT_Lm4ENS4_16DefaultPtrTraitsEiEENS_6detail16IndexBoundsCheckILm5EiEESC_Lm5ESD_iEENS6_INS7_ISA_SB_Lm4ESD_iEESH_SB_Lm5ESD_iEESI_iiiiiiiii,@function
_ZN2at6native12_GLOBAL__N_143conv_depthwise3d_cuda_backward_input_kernelIffLin1ELin1ELin1ELin1ELin1ELin1ELin1ELin1ELin1EEEvN5torch10headeronly6detail27GenericPackedTensorAccessorINS5_14TensorAccessorIN3c108ArrayRefIlEEKT_Lm4ENS4_16DefaultPtrTraitsEiEENS_6detail16IndexBoundsCheckILm5EiEESC_Lm5ESD_iEENS6_INS7_ISA_SB_Lm4ESD_iEESH_SB_Lm5ESD_iEESI_iiiiiiiii: ; @_ZN2at6native12_GLOBAL__N_143conv_depthwise3d_cuda_backward_input_kernelIffLin1ELin1ELin1ELin1ELin1ELin1ELin1ELin1ELin1EEEvN5torch10headeronly6detail27GenericPackedTensorAccessorINS5_14TensorAccessorIN3c108ArrayRefIlEEKT_Lm4ENS4_16DefaultPtrTraitsEiEENS_6detail16IndexBoundsCheckILm5EiEESC_Lm5ESD_iEENS6_INS7_ISA_SB_Lm4ESD_iEESH_SB_Lm5ESD_iEESI_iiiiiiiii
; %bb.0:
	s_clause 0x2
	s_load_b128 s[16:19], s[0:1], 0x38
	s_load_b32 s2, s[0:1], 0xc4
	s_load_b64 s[6:7], s[0:1], 0x48
	v_mov_b32_e32 v1, 0
	s_mov_b32 s4, exec_lo
	s_wait_kmcnt 0x0
	s_abs_i32 s33, s17
	s_and_b32 s2, s2, 0xffff
	s_cvt_f32_u32 s3, s33
	v_mad_co_u64_u32 v[0:1], null, s2, ttmp9, v[0:1]
	s_mul_i32 s34, s7, s16
	s_delay_alu instid0(SALU_CYCLE_1) | instskip(SKIP_1) | instid1(TRANS32_DEP_1)
	v_rcp_iflag_f32_e32 v2, s3
	s_ashr_i32 s35, s34, 31
	v_readfirstlane_b32 s3, v2
	v_cmpx_gt_i64_e64 s[34:35], v[0:1]
	s_cbranch_execz .LBB21_19
; %bb.1:
	s_clause 0x1
	s_load_b128 s[20:23], s[0:1], 0xc
	s_load_b64 s[38:39], s[0:1], 0x0
	s_mul_f32 s3, s3, 0x4f7ffffe
	s_sub_co_i32 s63, 0, s33
	s_mov_b32 s37, 0
	s_load_b128 s[24:27], s[0:1], 0x70
	s_cvt_u32_f32 s3, s3
	s_mov_b32 s5, s37
	s_ashr_i32 s16, s17, 31
	s_add_nc_u64 s[8:9], s[0:1], 0xb8
	s_wait_alu 0xfffe
	s_mul_i32 s4, s63, s3
	s_load_b32 s49, s[8:9], 0x0
	s_mul_hi_u32 s4, s3, s4
	s_clause 0x1
	s_load_b64 s[40:41], s[0:1], 0x1c
	s_load_b64 s[42:43], s[0:1], 0x30
	s_add_co_i32 s4, s3, s4
	s_clause 0x1
	s_load_b64 s[44:45], s[0:1], 0x60
	s_load_b128 s[28:31], s[0:1], 0x50
	s_wait_kmcnt 0x0
	s_abs_i32 s36, s20
	s_ashr_i32 s3, s20, 31
	s_mul_u64 s[4:5], s[36:37], s[4:5]
	s_wait_alu 0xfffe
	s_xor_b32 s3, s3, s16
	s_mul_i32 s4, s5, s33
	s_add_co_i32 s10, s5, 1
	s_sub_co_i32 s4, s36, s4
	s_delay_alu instid0(SALU_CYCLE_1)
	s_sub_co_i32 s11, s4, s33
	s_cmp_ge_u32 s4, s33
	s_mul_i32 s49, s49, s2
	s_cselect_b32 s5, s10, s5
	s_cselect_b32 s4, s11, s4
	s_add_co_i32 s20, s5, 1
	s_cmp_ge_u32 s4, s33
	s_load_b256 s[8:15], s[0:1], 0x90
	s_cselect_b32 s4, s20, s5
	s_load_b32 s20, s[0:1], 0xb0
	s_xor_b32 s4, s4, s3
	s_delay_alu instid0(SALU_CYCLE_1)
	s_sub_co_i32 s36, s4, s3
	s_cmp_gt_i32 s24, 0
	v_readfirstlane_b32 s3, v2
	s_cselect_b32 s46, -1, 0
	s_cmp_gt_i32 s25, 0
	s_cselect_b32 s47, -1, 0
	s_cmp_gt_i32 s26, 0
	s_mul_f32 s0, s3, 0x4f7ffffe
	s_cselect_b32 s48, -1, 0
	s_cmp_gt_i32 s36, 0
	s_cselect_b32 s50, -1, 0
	s_abs_i32 s52, s6
	s_abs_i32 s55, s18
	s_cvt_f32_u32 s1, s52
	s_cvt_f32_u32 s3, s55
	s_abs_i32 s54, s19
	s_wait_kmcnt 0x0
	s_abs_i32 s57, s8
	s_wait_alu 0xfffe
	v_rcp_iflag_f32_e32 v2, s1
	s_cvt_f32_u32 s2, s54
	v_rcp_iflag_f32_e32 v4, s3
	s_cvt_f32_u32 s1, s57
	s_abs_i32 s58, s9
	s_wait_alu 0xfffe
	v_rcp_iflag_f32_e32 v3, s2
	s_sub_co_i32 s2, 0, s52
	v_rcp_iflag_f32_e32 v5, s1
	s_cvt_f32_u32 s61, s58
	s_abs_i32 s59, s10
	v_readfirstlane_b32 s1, v2
	s_sub_co_i32 s60, 0, s55
	v_readfirstlane_b32 s5, v4
	v_rcp_iflag_f32_e32 v2, s61
	s_sub_co_i32 s3, 0, s54
	s_mul_f32 s1, s1, 0x4f7ffffe
	v_readfirstlane_b32 s4, v3
	s_mul_f32 s5, s5, 0x4f7ffffe
	v_readfirstlane_b32 s62, v5
	s_wait_alu 0xfffe
	s_cvt_u32_f32 s1, s1
	s_cvt_u32_f32 s0, s0
	s_mul_f32 s4, s4, 0x4f7ffffe
	s_cvt_u32_f32 s5, s5
	s_wait_alu 0xfffe
	s_mul_i32 s2, s2, s1
	s_mul_i32 s63, s63, s0
	s_wait_alu 0xfffe
	s_mul_hi_u32 s2, s1, s2
	s_cvt_u32_f32 s4, s4
	s_mul_i32 s64, s60, s5
	s_wait_alu 0xfffe
	s_add_co_i32 s60, s1, s2
	s_cvt_f32_u32 s1, s59
	s_mul_i32 s3, s3, s4
	s_mul_hi_u32 s2, s5, s64
	s_wait_alu 0xfffe
	s_mul_hi_u32 s3, s4, s3
	v_rcp_iflag_f32_e32 v3, s1
	s_wait_alu 0xfffe
	s_add_co_i32 s61, s4, s3
	s_mul_f32 s3, s62, 0x4f7ffffe
	s_add_co_i32 s62, s5, s2
	v_readfirstlane_b32 s2, v2
	s_sub_co_i32 s4, 0, s57
	s_wait_alu 0xfffe
	s_cvt_u32_f32 s1, s3
	s_mul_hi_u32 s3, s0, s63
	s_ashr_i32 s51, s6, 31
	s_wait_alu 0xfffe
	s_add_co_i32 s63, s0, s3
	s_mul_f32 s0, s2, 0x4f7ffffe
	v_readfirstlane_b32 s2, v3
	s_mul_i32 s4, s4, s1
	s_ashr_i32 s53, s19, 31
	s_mul_hi_u32 s3, s1, s4
	s_wait_alu 0xfffe
	s_cvt_u32_f32 s0, s0
	s_add_co_i32 s65, s1, s3
	s_mul_f32 s1, s2, 0x4f7ffffe
	s_sub_co_i32 s2, 0, s58
	s_sub_co_i32 s3, 0, s59
	s_wait_alu 0xfffe
	s_mul_i32 s2, s2, s0
	s_cvt_u32_f32 s1, s1
	s_wait_alu 0xfffe
	s_mul_hi_u32 s2, s0, s2
	s_ashr_i32 s56, s18, 31
	s_wait_alu 0xfffe
	s_add_co_i32 s67, s0, s2
	s_mul_i32 s3, s3, s1
	s_ashr_i32 s64, s8, 31
	s_wait_alu 0xfffe
	s_mul_hi_u32 s0, s1, s3
	s_ashr_i32 s66, s9, 31
	s_ashr_i32 s68, s10, 31
	s_wait_alu 0xfffe
	s_add_co_i32 s69, s1, s0
	s_branch .LBB21_4
.LBB21_2:                               ;   in Loop: Header=BB21_4 Depth=1
	s_or_b32 exec_lo, exec_lo, s70
.LBB21_3:                               ;   in Loop: Header=BB21_4 Depth=1
	v_mul_lo_u32 v2, v8, s7
	v_mul_lo_u32 v8, s28, v9
	;; [unrolled: 1-line block ×4, first 2 shown]
	v_add_co_u32 v0, vcc_lo, v0, s49
	v_mul_lo_u32 v12, s31, v4
	s_wait_alu 0xfffd
	v_add_co_ci_u32_e64 v1, null, 0, v1, vcc_lo
	v_ashrrev_i32_e32 v3, 31, v2
	v_ashrrev_i32_e32 v9, 31, v8
	;; [unrolled: 1-line block ×4, first 2 shown]
	s_delay_alu instid0(VALU_DEP_4) | instskip(NEXT) | instid1(VALU_DEP_4)
	v_lshlrev_b64_e32 v[2:3], 2, v[2:3]
	v_lshlrev_b64_e32 v[8:9], 2, v[8:9]
	v_ashrrev_i32_e32 v13, 31, v12
	s_delay_alu instid0(VALU_DEP_4) | instskip(NEXT) | instid1(VALU_DEP_4)
	v_lshlrev_b64_e32 v[6:7], 2, v[6:7]
	v_add_co_u32 v4, vcc_lo, s42, v2
	s_wait_alu 0xfffd
	v_add_co_ci_u32_e64 v14, null, s43, v3, vcc_lo
	v_lshlrev_b64_e32 v[2:3], 2, v[10:11]
	s_delay_alu instid0(VALU_DEP_3) | instskip(SKIP_1) | instid1(VALU_DEP_3)
	v_add_co_u32 v4, vcc_lo, v4, v8
	s_wait_alu 0xfffd
	v_add_co_ci_u32_e64 v8, null, v14, v9, vcc_lo
	s_delay_alu instid0(VALU_DEP_2) | instskip(SKIP_1) | instid1(VALU_DEP_2)
	v_add_co_u32 v4, vcc_lo, v4, v2
	s_wait_alu 0xfffd
	v_add_co_ci_u32_e64 v8, null, v8, v3, vcc_lo
	v_lshlrev_b64_e32 v[2:3], 2, v[12:13]
	s_delay_alu instid0(VALU_DEP_3) | instskip(SKIP_1) | instid1(VALU_DEP_3)
	v_add_co_u32 v4, vcc_lo, v4, v6
	s_wait_alu 0xfffd
	v_add_co_ci_u32_e64 v6, null, v8, v7, vcc_lo
	v_cmp_le_i64_e32 vcc_lo, s[34:35], v[0:1]
	s_delay_alu instid0(VALU_DEP_3) | instskip(SKIP_1) | instid1(VALU_DEP_3)
	v_add_co_u32 v2, s0, v4, v2
	s_wait_alu 0xf1ff
	v_add_co_ci_u32_e64 v3, null, v6, v3, s0
	s_or_b32 s37, vcc_lo, s37
	global_store_b32 v[2:3], v5, off
	s_wait_alu 0xfffe
	s_and_not1_b32 exec_lo, exec_lo, s37
	s_cbranch_execz .LBB21_19
.LBB21_4:                               ; =>This Loop Header: Depth=1
                                        ;     Child Loop BB21_7 Depth 2
                                        ;       Child Loop BB21_10 Depth 3
                                        ;         Child Loop BB21_13 Depth 4
                                        ;           Child Loop BB21_16 Depth 5
	v_sub_nc_u32_e32 v2, 0, v0
	s_delay_alu instid0(VALU_DEP_1) | instskip(NEXT) | instid1(VALU_DEP_1)
	v_max_i32_e32 v2, v0, v2
	v_mul_hi_u32 v3, v2, s60
	s_delay_alu instid0(VALU_DEP_1) | instskip(NEXT) | instid1(VALU_DEP_1)
	v_mul_lo_u32 v4, v3, s52
	v_sub_nc_u32_e32 v2, v2, v4
	v_add_nc_u32_e32 v4, 1, v3
	s_delay_alu instid0(VALU_DEP_2) | instskip(SKIP_2) | instid1(VALU_DEP_2)
	v_subrev_nc_u32_e32 v5, s52, v2
	v_cmp_le_u32_e32 vcc_lo, s52, v2
	s_wait_alu 0xfffd
	v_dual_cndmask_b32 v3, v3, v4 :: v_dual_cndmask_b32 v2, v2, v5
	v_ashrrev_i32_e32 v4, 31, v0
	s_delay_alu instid0(VALU_DEP_2) | instskip(NEXT) | instid1(VALU_DEP_3)
	v_add_nc_u32_e32 v5, 1, v3
	v_cmp_le_u32_e32 vcc_lo, s52, v2
	s_delay_alu instid0(VALU_DEP_3) | instskip(SKIP_1) | instid1(VALU_DEP_3)
	v_xor_b32_e32 v4, s51, v4
	s_wait_alu 0xfffd
	v_cndmask_b32_e32 v2, v3, v5, vcc_lo
	s_delay_alu instid0(VALU_DEP_1) | instskip(NEXT) | instid1(VALU_DEP_1)
	v_xor_b32_e32 v2, v2, v4
	v_sub_nc_u32_e32 v2, v2, v4
	s_delay_alu instid0(VALU_DEP_1) | instskip(NEXT) | instid1(VALU_DEP_1)
	v_sub_nc_u32_e32 v3, 0, v2
	v_max_i32_e32 v3, v2, v3
	s_delay_alu instid0(VALU_DEP_1) | instskip(NEXT) | instid1(VALU_DEP_1)
	v_mul_hi_u32 v4, v3, s61
	v_mul_lo_u32 v5, v4, s54
	s_delay_alu instid0(VALU_DEP_1) | instskip(SKIP_1) | instid1(VALU_DEP_2)
	v_sub_nc_u32_e32 v3, v3, v5
	v_add_nc_u32_e32 v5, 1, v4
	v_subrev_nc_u32_e32 v6, s54, v3
	v_cmp_le_u32_e32 vcc_lo, s54, v3
	s_wait_alu 0xfffd
	s_delay_alu instid0(VALU_DEP_2) | instskip(SKIP_1) | instid1(VALU_DEP_2)
	v_dual_cndmask_b32 v4, v4, v5 :: v_dual_cndmask_b32 v3, v3, v6
	v_ashrrev_i32_e32 v5, 31, v2
	v_add_nc_u32_e32 v6, 1, v4
	s_delay_alu instid0(VALU_DEP_3) | instskip(NEXT) | instid1(VALU_DEP_3)
	v_cmp_le_u32_e32 vcc_lo, s54, v3
	v_xor_b32_e32 v5, s53, v5
	s_wait_alu 0xfffd
	s_delay_alu instid0(VALU_DEP_3) | instskip(NEXT) | instid1(VALU_DEP_1)
	v_cndmask_b32_e32 v3, v4, v6, vcc_lo
	v_xor_b32_e32 v3, v3, v5
	s_delay_alu instid0(VALU_DEP_1) | instskip(NEXT) | instid1(VALU_DEP_1)
	v_sub_nc_u32_e32 v3, v3, v5
	v_sub_nc_u32_e32 v4, 0, v3
	s_delay_alu instid0(VALU_DEP_1) | instskip(NEXT) | instid1(VALU_DEP_1)
	v_max_i32_e32 v4, v3, v4
	v_mul_hi_u32 v5, v4, s62
	s_delay_alu instid0(VALU_DEP_1) | instskip(NEXT) | instid1(VALU_DEP_1)
	v_mul_lo_u32 v6, v5, s55
	v_sub_nc_u32_e32 v4, v4, v6
	v_add_nc_u32_e32 v6, 1, v5
	s_delay_alu instid0(VALU_DEP_2) | instskip(SKIP_2) | instid1(VALU_DEP_2)
	v_subrev_nc_u32_e32 v7, s55, v4
	v_cmp_le_u32_e32 vcc_lo, s55, v4
	s_wait_alu 0xfffd
	v_dual_cndmask_b32 v5, v5, v6 :: v_dual_cndmask_b32 v4, v4, v7
	v_ashrrev_i32_e32 v6, 31, v3
	s_delay_alu instid0(VALU_DEP_2) | instskip(NEXT) | instid1(VALU_DEP_3)
	v_add_nc_u32_e32 v7, 1, v5
	v_cmp_le_u32_e32 vcc_lo, s55, v4
	s_delay_alu instid0(VALU_DEP_3) | instskip(SKIP_1) | instid1(VALU_DEP_3)
	v_xor_b32_e32 v6, s56, v6
	s_wait_alu 0xfffd
	v_cndmask_b32_e32 v4, v5, v7, vcc_lo
	s_delay_alu instid0(VALU_DEP_1) | instskip(NEXT) | instid1(VALU_DEP_1)
	v_xor_b32_e32 v4, v4, v6
	v_sub_nc_u32_e32 v5, v4, v6
	s_delay_alu instid0(VALU_DEP_1) | instskip(NEXT) | instid1(VALU_DEP_1)
	v_sub_nc_u32_e32 v4, 0, v5
	v_max_i32_e32 v4, v5, v4
	s_delay_alu instid0(VALU_DEP_1) | instskip(NEXT) | instid1(VALU_DEP_1)
	v_mul_hi_u32 v6, v4, s63
	v_mul_lo_u32 v7, v6, s33
	s_delay_alu instid0(VALU_DEP_1) | instskip(SKIP_1) | instid1(VALU_DEP_2)
	v_sub_nc_u32_e32 v4, v4, v7
	v_add_nc_u32_e32 v7, 1, v6
	v_subrev_nc_u32_e32 v8, s33, v4
	v_cmp_le_u32_e32 vcc_lo, s33, v4
	s_wait_alu 0xfffd
	s_delay_alu instid0(VALU_DEP_3) | instskip(NEXT) | instid1(VALU_DEP_3)
	v_cndmask_b32_e32 v6, v6, v7, vcc_lo
	v_cndmask_b32_e32 v4, v4, v8, vcc_lo
	v_ashrrev_i32_e32 v7, 31, v5
	s_delay_alu instid0(VALU_DEP_3) | instskip(NEXT) | instid1(VALU_DEP_3)
	v_add_nc_u32_e32 v8, 1, v6
	v_cmp_le_u32_e32 vcc_lo, s33, v4
	s_delay_alu instid0(VALU_DEP_3) | instskip(SKIP_1) | instid1(VALU_DEP_3)
	v_xor_b32_e32 v7, s16, v7
	s_wait_alu 0xfffd
	v_cndmask_b32_e32 v4, v6, v8, vcc_lo
	v_mul_lo_u32 v6, v3, s19
	s_and_not1_b32 vcc_lo, exec_lo, s50
	s_delay_alu instid0(VALU_DEP_2) | instskip(NEXT) | instid1(VALU_DEP_2)
	v_xor_b32_e32 v4, v4, v7
	v_sub_nc_u32_e32 v6, v2, v6
	s_delay_alu instid0(VALU_DEP_2) | instskip(SKIP_2) | instid1(VALU_DEP_3)
	v_sub_nc_u32_e32 v8, v4, v7
	v_mul_lo_u32 v4, v2, s6
	v_mul_lo_u32 v7, v5, s18
	;; [unrolled: 1-line block ×3, first 2 shown]
	s_delay_alu instid0(VALU_DEP_3) | instskip(NEXT) | instid1(VALU_DEP_3)
	v_sub_nc_u32_e32 v4, v0, v4
	v_sub_nc_u32_e32 v7, v3, v7
	s_delay_alu instid0(VALU_DEP_3)
	v_sub_nc_u32_e32 v9, v5, v9
	s_wait_alu 0xfffe
	s_cbranch_vccnz .LBB21_18
; %bb.5:                                ;   in Loop: Header=BB21_4 Depth=1
	s_delay_alu instid0(VALU_DEP_1)
	v_mul_lo_u32 v10, v9, s36
	v_mul_lo_u32 v2, s40, v8
	v_add_nc_u32_e32 v11, s13, v4
	v_dual_mov_b32 v5, 0 :: v_dual_add_nc_u32 v12, s12, v6
	v_add_nc_u32_e32 v13, s11, v7
	s_mov_b32 s70, 0
	v_mul_lo_u32 v15, s27, v10
	v_ashrrev_i32_e32 v3, 31, v2
	v_add_nc_u32_e32 v14, s36, v10
	s_delay_alu instid0(VALU_DEP_2) | instskip(NEXT) | instid1(VALU_DEP_4)
	v_lshlrev_b64_e32 v[2:3], 2, v[2:3]
	v_ashrrev_i32_e32 v16, 31, v15
	s_delay_alu instid0(VALU_DEP_1) | instskip(NEXT) | instid1(VALU_DEP_3)
	v_lshlrev_b64_e32 v[17:18], 2, v[15:16]
	v_add_co_u32 v15, vcc_lo, s38, v2
	s_wait_alu 0xfffd
	s_delay_alu instid0(VALU_DEP_4) | instskip(NEXT) | instid1(VALU_DEP_3)
	v_add_co_ci_u32_e64 v16, null, s39, v3, vcc_lo
	v_add_co_u32 v2, vcc_lo, s44, v17
	s_wait_alu 0xfffd
	v_add_co_ci_u32_e64 v3, null, s45, v18, vcc_lo
	s_branch .LBB21_7
.LBB21_6:                               ;   in Loop: Header=BB21_7 Depth=2
	v_add_nc_u32_e32 v10, 1, v10
	s_delay_alu instid0(VALU_DEP_1) | instskip(SKIP_1) | instid1(SALU_CYCLE_1)
	v_cmp_ge_i32_e32 vcc_lo, v10, v14
	s_or_b32 s70, vcc_lo, s70
	s_and_not1_b32 exec_lo, exec_lo, s70
	s_cbranch_execz .LBB21_2
.LBB21_7:                               ;   Parent Loop BB21_4 Depth=1
                                        ; =>  This Loop Header: Depth=2
                                        ;       Child Loop BB21_10 Depth 3
                                        ;         Child Loop BB21_13 Depth 4
                                        ;           Child Loop BB21_16 Depth 5
	s_and_not1_b32 vcc_lo, exec_lo, s46
	s_wait_alu 0xfffe
	s_cbranch_vccnz .LBB21_6
; %bb.8:                                ;   in Loop: Header=BB21_7 Depth=2
	v_mul_lo_u32 v17, s41, v10
	s_mov_b32 s71, 0
	s_delay_alu instid0(VALU_DEP_1) | instskip(NEXT) | instid1(VALU_DEP_1)
	v_ashrrev_i32_e32 v18, 31, v17
	v_lshlrev_b64_e32 v[17:18], 2, v[17:18]
	s_delay_alu instid0(VALU_DEP_1) | instskip(SKIP_1) | instid1(VALU_DEP_2)
	v_add_co_u32 v17, vcc_lo, v15, v17
	s_wait_alu 0xfffd
	v_add_co_ci_u32_e64 v18, null, v16, v18, vcc_lo
	s_branch .LBB21_10
.LBB21_9:                               ;   in Loop: Header=BB21_10 Depth=3
	s_add_co_i32 s71, s71, 1
	s_delay_alu instid0(SALU_CYCLE_1)
	s_cmp_eq_u32 s71, s24
	s_cbranch_scc1 .LBB21_6
.LBB21_10:                              ;   Parent Loop BB21_4 Depth=1
                                        ;     Parent Loop BB21_7 Depth=2
                                        ; =>    This Loop Header: Depth=3
                                        ;         Child Loop BB21_13 Depth 4
                                        ;           Child Loop BB21_16 Depth 5
	s_and_not1_b32 vcc_lo, exec_lo, s47
	s_wait_alu 0xfffe
	s_cbranch_vccnz .LBB21_9
; %bb.11:                               ;   in Loop: Header=BB21_10 Depth=3
	s_mul_i32 s0, s14, s71
	s_mov_b32 s72, 0
	s_wait_alu 0xfffe
	v_subrev_nc_u32_e32 v20, s0, v13
	s_delay_alu instid0(VALU_DEP_1) | instskip(NEXT) | instid1(VALU_DEP_1)
	v_sub_nc_u32_e32 v19, 0, v20
	v_max_i32_e32 v19, v20, v19
	s_delay_alu instid0(VALU_DEP_1) | instskip(NEXT) | instid1(VALU_DEP_1)
	v_mul_hi_u32 v21, v19, s65
	v_mul_lo_u32 v22, v21, s57
	s_delay_alu instid0(VALU_DEP_1) | instskip(NEXT) | instid1(VALU_DEP_1)
	v_sub_nc_u32_e32 v19, v19, v22
	v_subrev_nc_u32_e32 v23, s57, v19
	v_cmp_le_u32_e32 vcc_lo, s57, v19
	s_wait_alu 0xfffd
	s_delay_alu instid0(VALU_DEP_2) | instskip(NEXT) | instid1(VALU_DEP_1)
	v_dual_cndmask_b32 v19, v19, v23 :: v_dual_add_nc_u32 v22, 1, v21
	v_cndmask_b32_e32 v21, v21, v22, vcc_lo
	v_ashrrev_i32_e32 v22, 31, v20
	s_delay_alu instid0(VALU_DEP_3) | instskip(NEXT) | instid1(VALU_DEP_3)
	v_cmp_le_u32_e32 vcc_lo, s57, v19
	v_add_nc_u32_e32 v23, 1, v21
	s_delay_alu instid0(VALU_DEP_3) | instskip(SKIP_1) | instid1(VALU_DEP_2)
	v_xor_b32_e32 v22, s64, v22
	s_wait_alu 0xfffd
	v_cndmask_b32_e32 v19, v21, v23, vcc_lo
	s_delay_alu instid0(VALU_DEP_1) | instskip(NEXT) | instid1(VALU_DEP_1)
	v_xor_b32_e32 v19, v19, v22
	v_sub_nc_u32_e32 v21, v19, v22
	s_delay_alu instid0(VALU_DEP_1) | instskip(SKIP_3) | instid1(VALU_DEP_4)
	v_mul_lo_u32 v22, v21, s8
	v_mul_lo_u32 v19, v21, s22
	v_cmp_lt_i32_e64 s0, -1, v21
	v_cmp_gt_i32_e64 s1, s21, v21
	v_cmp_eq_u32_e64 s2, v22, v20
	s_branch .LBB21_13
.LBB21_12:                              ;   in Loop: Header=BB21_13 Depth=4
	s_add_co_i32 s72, s72, 1
	s_delay_alu instid0(SALU_CYCLE_1)
	s_cmp_eq_u32 s72, s25
	s_cbranch_scc1 .LBB21_9
.LBB21_13:                              ;   Parent Loop BB21_4 Depth=1
                                        ;     Parent Loop BB21_7 Depth=2
                                        ;       Parent Loop BB21_10 Depth=3
                                        ; =>      This Loop Header: Depth=4
                                        ;           Child Loop BB21_16 Depth 5
	s_and_not1_b32 vcc_lo, exec_lo, s48
	s_wait_alu 0xfffe
	s_cbranch_vccnz .LBB21_12
; %bb.14:                               ;   in Loop: Header=BB21_13 Depth=4
	s_mul_i32 s3, s15, s72
	s_mov_b32 s74, s26
	s_wait_alu 0xfffe
	v_subrev_nc_u32_e32 v21, s3, v12
	s_delay_alu instid0(VALU_DEP_1) | instskip(NEXT) | instid1(VALU_DEP_1)
	v_sub_nc_u32_e32 v20, 0, v21
	v_max_i32_e32 v20, v21, v20
	s_delay_alu instid0(VALU_DEP_1) | instskip(NEXT) | instid1(VALU_DEP_1)
	v_mul_hi_u32 v22, v20, s67
	v_mul_lo_u32 v23, v22, s58
	s_delay_alu instid0(VALU_DEP_1) | instskip(NEXT) | instid1(VALU_DEP_1)
	v_sub_nc_u32_e32 v20, v20, v23
	v_subrev_nc_u32_e32 v24, s58, v20
	v_cmp_le_u32_e32 vcc_lo, s58, v20
	s_wait_alu 0xfffd
	s_delay_alu instid0(VALU_DEP_2) | instskip(NEXT) | instid1(VALU_DEP_1)
	v_dual_cndmask_b32 v20, v20, v24 :: v_dual_add_nc_u32 v23, 1, v22
	v_cndmask_b32_e32 v22, v22, v23, vcc_lo
	v_ashrrev_i32_e32 v23, 31, v21
	s_delay_alu instid0(VALU_DEP_3) | instskip(NEXT) | instid1(VALU_DEP_3)
	v_cmp_le_u32_e32 vcc_lo, s58, v20
	v_add_nc_u32_e32 v24, 1, v22
	s_delay_alu instid0(VALU_DEP_3) | instskip(SKIP_1) | instid1(VALU_DEP_2)
	v_xor_b32_e32 v23, s66, v23
	s_wait_alu 0xfffd
	v_cndmask_b32_e32 v20, v22, v24, vcc_lo
	s_delay_alu instid0(VALU_DEP_1) | instskip(NEXT) | instid1(VALU_DEP_1)
	v_xor_b32_e32 v20, v20, v23
	v_sub_nc_u32_e32 v22, v20, v23
	s_delay_alu instid0(VALU_DEP_1) | instskip(SKIP_3) | instid1(VALU_DEP_3)
	v_mul_lo_u32 v23, v22, s9
	v_add_nc_u32_e32 v20, v22, v19
	v_cmp_gt_i32_e64 s3, s22, v22
	v_cmp_lt_i32_e32 vcc_lo, -1, v22
	v_mul_lo_u32 v20, v20, s23
	v_cmp_eq_u32_e64 s4, v23, v21
	v_mov_b32_e32 v21, v11
	s_and_b32 s73, s2, s4
	s_branch .LBB21_16
.LBB21_15:                              ;   in Loop: Header=BB21_16 Depth=5
	s_wait_alu 0xfffe
	s_or_b32 exec_lo, exec_lo, s5
	v_mul_lo_u32 v23, v23, s10
	s_wait_loadcnt 0x0
	v_fma_f32 v22, v22, v24, v5
	v_add_co_u32 v2, s5, v2, 4
	s_wait_alu 0xf1ff
	v_add_co_ci_u32_e64 v3, null, 0, v3, s5
	s_add_co_i32 s74, s74, -1
	v_cmp_eq_u32_e64 s4, v21, v23
	v_subrev_nc_u32_e32 v21, s20, v21
	s_and_b32 s4, s73, s4
	s_cmp_eq_u32 s74, 0
	s_wait_alu 0xfffe
	v_cndmask_b32_e64 v5, v5, v22, s4
	s_cbranch_scc1 .LBB21_12
.LBB21_16:                              ;   Parent Loop BB21_4 Depth=1
                                        ;     Parent Loop BB21_7 Depth=2
                                        ;       Parent Loop BB21_10 Depth=3
                                        ;         Parent Loop BB21_13 Depth=4
                                        ; =>        This Inner Loop Header: Depth=5
	global_load_b32 v22, v[2:3], off
	v_sub_nc_u32_e32 v23, 0, v21
	s_delay_alu instid0(VALU_DEP_1) | instskip(NEXT) | instid1(VALU_DEP_1)
	v_max_i32_e32 v23, v21, v23
	v_mul_hi_u32 v24, v23, s69
	s_delay_alu instid0(VALU_DEP_1) | instskip(NEXT) | instid1(VALU_DEP_1)
	v_mul_lo_u32 v25, v24, s59
	v_sub_nc_u32_e32 v23, v23, v25
	v_add_nc_u32_e32 v25, 1, v24
	s_delay_alu instid0(VALU_DEP_2) | instskip(SKIP_2) | instid1(VALU_DEP_1)
	v_subrev_nc_u32_e32 v26, s59, v23
	v_cmp_le_u32_e64 s4, s59, v23
	s_wait_alu 0xf1ff
	v_cndmask_b32_e64 v24, v24, v25, s4
	s_delay_alu instid0(VALU_DEP_3) | instskip(SKIP_1) | instid1(VALU_DEP_3)
	v_cndmask_b32_e64 v23, v23, v26, s4
	v_ashrrev_i32_e32 v25, 31, v21
	v_add_nc_u32_e32 v26, 1, v24
	s_delay_alu instid0(VALU_DEP_3) | instskip(NEXT) | instid1(VALU_DEP_3)
	v_cmp_le_u32_e64 s4, s59, v23
	v_xor_b32_e32 v25, s68, v25
	s_wait_alu 0xf1ff
	s_delay_alu instid0(VALU_DEP_2) | instskip(SKIP_1) | instid1(VALU_DEP_2)
	v_cndmask_b32_e64 v23, v24, v26, s4
	v_mov_b32_e32 v24, 0
	v_xor_b32_e32 v23, v23, v25
	s_delay_alu instid0(VALU_DEP_1) | instskip(NEXT) | instid1(VALU_DEP_1)
	v_sub_nc_u32_e32 v23, v23, v25
	v_cmp_lt_i32_e64 s4, -1, v23
	v_cmp_gt_i32_e64 s5, s23, v23
	s_and_b32 s4, s4, vcc_lo
	s_wait_alu 0xfffe
	s_and_b32 s4, s4, s0
	s_wait_alu 0xfffe
	s_and_b32 s4, s5, s4
	s_wait_alu 0xfffe
	s_and_b32 s4, s4, s3
	s_wait_alu 0xfffe
	s_and_b32 s4, s4, s1
	s_wait_alu 0xfffe
	s_and_saveexec_b32 s5, s4
	s_cbranch_execz .LBB21_15
; %bb.17:                               ;   in Loop: Header=BB21_16 Depth=5
	v_add_nc_u32_e32 v24, v23, v20
	s_delay_alu instid0(VALU_DEP_1) | instskip(NEXT) | instid1(VALU_DEP_1)
	v_ashrrev_i32_e32 v25, 31, v24
	v_lshlrev_b64_e32 v[24:25], 2, v[24:25]
	s_delay_alu instid0(VALU_DEP_1) | instskip(SKIP_1) | instid1(VALU_DEP_2)
	v_add_co_u32 v24, s4, v17, v24
	s_wait_alu 0xf1ff
	v_add_co_ci_u32_e64 v25, null, v18, v25, s4
	global_load_b32 v24, v[24:25], off
	s_branch .LBB21_15
.LBB21_18:                              ;   in Loop: Header=BB21_4 Depth=1
	v_mov_b32_e32 v5, 0
	s_branch .LBB21_3
.LBB21_19:
	s_endpgm
	.section	.rodata,"a",@progbits
	.p2align	6, 0x0
	.amdhsa_kernel _ZN2at6native12_GLOBAL__N_143conv_depthwise3d_cuda_backward_input_kernelIffLin1ELin1ELin1ELin1ELin1ELin1ELin1ELin1ELin1EEEvN5torch10headeronly6detail27GenericPackedTensorAccessorINS5_14TensorAccessorIN3c108ArrayRefIlEEKT_Lm4ENS4_16DefaultPtrTraitsEiEENS_6detail16IndexBoundsCheckILm5EiEESC_Lm5ESD_iEENS6_INS7_ISA_SB_Lm4ESD_iEESH_SB_Lm5ESD_iEESI_iiiiiiiii
		.amdhsa_group_segment_fixed_size 0
		.amdhsa_private_segment_fixed_size 0
		.amdhsa_kernarg_size 440
		.amdhsa_user_sgpr_count 2
		.amdhsa_user_sgpr_dispatch_ptr 0
		.amdhsa_user_sgpr_queue_ptr 0
		.amdhsa_user_sgpr_kernarg_segment_ptr 1
		.amdhsa_user_sgpr_dispatch_id 0
		.amdhsa_user_sgpr_private_segment_size 0
		.amdhsa_wavefront_size32 1
		.amdhsa_uses_dynamic_stack 0
		.amdhsa_enable_private_segment 0
		.amdhsa_system_sgpr_workgroup_id_x 1
		.amdhsa_system_sgpr_workgroup_id_y 0
		.amdhsa_system_sgpr_workgroup_id_z 0
		.amdhsa_system_sgpr_workgroup_info 0
		.amdhsa_system_vgpr_workitem_id 0
		.amdhsa_next_free_vgpr 27
		.amdhsa_next_free_sgpr 75
		.amdhsa_reserve_vcc 1
		.amdhsa_float_round_mode_32 0
		.amdhsa_float_round_mode_16_64 0
		.amdhsa_float_denorm_mode_32 3
		.amdhsa_float_denorm_mode_16_64 3
		.amdhsa_fp16_overflow 0
		.amdhsa_workgroup_processor_mode 1
		.amdhsa_memory_ordered 1
		.amdhsa_forward_progress 1
		.amdhsa_inst_pref_size 20
		.amdhsa_round_robin_scheduling 0
		.amdhsa_exception_fp_ieee_invalid_op 0
		.amdhsa_exception_fp_denorm_src 0
		.amdhsa_exception_fp_ieee_div_zero 0
		.amdhsa_exception_fp_ieee_overflow 0
		.amdhsa_exception_fp_ieee_underflow 0
		.amdhsa_exception_fp_ieee_inexact 0
		.amdhsa_exception_int_div_zero 0
	.end_amdhsa_kernel
	.section	.text._ZN2at6native12_GLOBAL__N_143conv_depthwise3d_cuda_backward_input_kernelIffLin1ELin1ELin1ELin1ELin1ELin1ELin1ELin1ELin1EEEvN5torch10headeronly6detail27GenericPackedTensorAccessorINS5_14TensorAccessorIN3c108ArrayRefIlEEKT_Lm4ENS4_16DefaultPtrTraitsEiEENS_6detail16IndexBoundsCheckILm5EiEESC_Lm5ESD_iEENS6_INS7_ISA_SB_Lm4ESD_iEESH_SB_Lm5ESD_iEESI_iiiiiiiii,"axG",@progbits,_ZN2at6native12_GLOBAL__N_143conv_depthwise3d_cuda_backward_input_kernelIffLin1ELin1ELin1ELin1ELin1ELin1ELin1ELin1ELin1EEEvN5torch10headeronly6detail27GenericPackedTensorAccessorINS5_14TensorAccessorIN3c108ArrayRefIlEEKT_Lm4ENS4_16DefaultPtrTraitsEiEENS_6detail16IndexBoundsCheckILm5EiEESC_Lm5ESD_iEENS6_INS7_ISA_SB_Lm4ESD_iEESH_SB_Lm5ESD_iEESI_iiiiiiiii,comdat
.Lfunc_end21:
	.size	_ZN2at6native12_GLOBAL__N_143conv_depthwise3d_cuda_backward_input_kernelIffLin1ELin1ELin1ELin1ELin1ELin1ELin1ELin1ELin1EEEvN5torch10headeronly6detail27GenericPackedTensorAccessorINS5_14TensorAccessorIN3c108ArrayRefIlEEKT_Lm4ENS4_16DefaultPtrTraitsEiEENS_6detail16IndexBoundsCheckILm5EiEESC_Lm5ESD_iEENS6_INS7_ISA_SB_Lm4ESD_iEESH_SB_Lm5ESD_iEESI_iiiiiiiii, .Lfunc_end21-_ZN2at6native12_GLOBAL__N_143conv_depthwise3d_cuda_backward_input_kernelIffLin1ELin1ELin1ELin1ELin1ELin1ELin1ELin1ELin1EEEvN5torch10headeronly6detail27GenericPackedTensorAccessorINS5_14TensorAccessorIN3c108ArrayRefIlEEKT_Lm4ENS4_16DefaultPtrTraitsEiEENS_6detail16IndexBoundsCheckILm5EiEESC_Lm5ESD_iEENS6_INS7_ISA_SB_Lm4ESD_iEESH_SB_Lm5ESD_iEESI_iiiiiiiii
                                        ; -- End function
	.set _ZN2at6native12_GLOBAL__N_143conv_depthwise3d_cuda_backward_input_kernelIffLin1ELin1ELin1ELin1ELin1ELin1ELin1ELin1ELin1EEEvN5torch10headeronly6detail27GenericPackedTensorAccessorINS5_14TensorAccessorIN3c108ArrayRefIlEEKT_Lm4ENS4_16DefaultPtrTraitsEiEENS_6detail16IndexBoundsCheckILm5EiEESC_Lm5ESD_iEENS6_INS7_ISA_SB_Lm4ESD_iEESH_SB_Lm5ESD_iEESI_iiiiiiiii.num_vgpr, 27
	.set _ZN2at6native12_GLOBAL__N_143conv_depthwise3d_cuda_backward_input_kernelIffLin1ELin1ELin1ELin1ELin1ELin1ELin1ELin1ELin1EEEvN5torch10headeronly6detail27GenericPackedTensorAccessorINS5_14TensorAccessorIN3c108ArrayRefIlEEKT_Lm4ENS4_16DefaultPtrTraitsEiEENS_6detail16IndexBoundsCheckILm5EiEESC_Lm5ESD_iEENS6_INS7_ISA_SB_Lm4ESD_iEESH_SB_Lm5ESD_iEESI_iiiiiiiii.num_agpr, 0
	.set _ZN2at6native12_GLOBAL__N_143conv_depthwise3d_cuda_backward_input_kernelIffLin1ELin1ELin1ELin1ELin1ELin1ELin1ELin1ELin1EEEvN5torch10headeronly6detail27GenericPackedTensorAccessorINS5_14TensorAccessorIN3c108ArrayRefIlEEKT_Lm4ENS4_16DefaultPtrTraitsEiEENS_6detail16IndexBoundsCheckILm5EiEESC_Lm5ESD_iEENS6_INS7_ISA_SB_Lm4ESD_iEESH_SB_Lm5ESD_iEESI_iiiiiiiii.numbered_sgpr, 75
	.set _ZN2at6native12_GLOBAL__N_143conv_depthwise3d_cuda_backward_input_kernelIffLin1ELin1ELin1ELin1ELin1ELin1ELin1ELin1ELin1EEEvN5torch10headeronly6detail27GenericPackedTensorAccessorINS5_14TensorAccessorIN3c108ArrayRefIlEEKT_Lm4ENS4_16DefaultPtrTraitsEiEENS_6detail16IndexBoundsCheckILm5EiEESC_Lm5ESD_iEENS6_INS7_ISA_SB_Lm4ESD_iEESH_SB_Lm5ESD_iEESI_iiiiiiiii.num_named_barrier, 0
	.set _ZN2at6native12_GLOBAL__N_143conv_depthwise3d_cuda_backward_input_kernelIffLin1ELin1ELin1ELin1ELin1ELin1ELin1ELin1ELin1EEEvN5torch10headeronly6detail27GenericPackedTensorAccessorINS5_14TensorAccessorIN3c108ArrayRefIlEEKT_Lm4ENS4_16DefaultPtrTraitsEiEENS_6detail16IndexBoundsCheckILm5EiEESC_Lm5ESD_iEENS6_INS7_ISA_SB_Lm4ESD_iEESH_SB_Lm5ESD_iEESI_iiiiiiiii.private_seg_size, 0
	.set _ZN2at6native12_GLOBAL__N_143conv_depthwise3d_cuda_backward_input_kernelIffLin1ELin1ELin1ELin1ELin1ELin1ELin1ELin1ELin1EEEvN5torch10headeronly6detail27GenericPackedTensorAccessorINS5_14TensorAccessorIN3c108ArrayRefIlEEKT_Lm4ENS4_16DefaultPtrTraitsEiEENS_6detail16IndexBoundsCheckILm5EiEESC_Lm5ESD_iEENS6_INS7_ISA_SB_Lm4ESD_iEESH_SB_Lm5ESD_iEESI_iiiiiiiii.uses_vcc, 1
	.set _ZN2at6native12_GLOBAL__N_143conv_depthwise3d_cuda_backward_input_kernelIffLin1ELin1ELin1ELin1ELin1ELin1ELin1ELin1ELin1EEEvN5torch10headeronly6detail27GenericPackedTensorAccessorINS5_14TensorAccessorIN3c108ArrayRefIlEEKT_Lm4ENS4_16DefaultPtrTraitsEiEENS_6detail16IndexBoundsCheckILm5EiEESC_Lm5ESD_iEENS6_INS7_ISA_SB_Lm4ESD_iEESH_SB_Lm5ESD_iEESI_iiiiiiiii.uses_flat_scratch, 0
	.set _ZN2at6native12_GLOBAL__N_143conv_depthwise3d_cuda_backward_input_kernelIffLin1ELin1ELin1ELin1ELin1ELin1ELin1ELin1ELin1EEEvN5torch10headeronly6detail27GenericPackedTensorAccessorINS5_14TensorAccessorIN3c108ArrayRefIlEEKT_Lm4ENS4_16DefaultPtrTraitsEiEENS_6detail16IndexBoundsCheckILm5EiEESC_Lm5ESD_iEENS6_INS7_ISA_SB_Lm4ESD_iEESH_SB_Lm5ESD_iEESI_iiiiiiiii.has_dyn_sized_stack, 0
	.set _ZN2at6native12_GLOBAL__N_143conv_depthwise3d_cuda_backward_input_kernelIffLin1ELin1ELin1ELin1ELin1ELin1ELin1ELin1ELin1EEEvN5torch10headeronly6detail27GenericPackedTensorAccessorINS5_14TensorAccessorIN3c108ArrayRefIlEEKT_Lm4ENS4_16DefaultPtrTraitsEiEENS_6detail16IndexBoundsCheckILm5EiEESC_Lm5ESD_iEENS6_INS7_ISA_SB_Lm4ESD_iEESH_SB_Lm5ESD_iEESI_iiiiiiiii.has_recursion, 0
	.set _ZN2at6native12_GLOBAL__N_143conv_depthwise3d_cuda_backward_input_kernelIffLin1ELin1ELin1ELin1ELin1ELin1ELin1ELin1ELin1EEEvN5torch10headeronly6detail27GenericPackedTensorAccessorINS5_14TensorAccessorIN3c108ArrayRefIlEEKT_Lm4ENS4_16DefaultPtrTraitsEiEENS_6detail16IndexBoundsCheckILm5EiEESC_Lm5ESD_iEENS6_INS7_ISA_SB_Lm4ESD_iEESH_SB_Lm5ESD_iEESI_iiiiiiiii.has_indirect_call, 0
	.section	.AMDGPU.csdata,"",@progbits
; Kernel info:
; codeLenInByte = 2512
; TotalNumSgprs: 77
; NumVgprs: 27
; ScratchSize: 0
; MemoryBound: 0
; FloatMode: 240
; IeeeMode: 1
; LDSByteSize: 0 bytes/workgroup (compile time only)
; SGPRBlocks: 0
; VGPRBlocks: 3
; NumSGPRsForWavesPerEU: 77
; NumVGPRsForWavesPerEU: 27
; Occupancy: 16
; WaveLimiterHint : 0
; COMPUTE_PGM_RSRC2:SCRATCH_EN: 0
; COMPUTE_PGM_RSRC2:USER_SGPR: 2
; COMPUTE_PGM_RSRC2:TRAP_HANDLER: 0
; COMPUTE_PGM_RSRC2:TGID_X_EN: 1
; COMPUTE_PGM_RSRC2:TGID_Y_EN: 0
; COMPUTE_PGM_RSRC2:TGID_Z_EN: 0
; COMPUTE_PGM_RSRC2:TIDIG_COMP_CNT: 0
	.section	.text._ZN2at6native12_GLOBAL__N_143conv_depthwise3d_cuda_backward_input_kernelIN3c104HalfEfLi3ELi3ELi3ELi1ELi1ELi1ELi1ELi1ELi1EEEvN5torch10headeronly6detail27GenericPackedTensorAccessorINS7_14TensorAccessorINS3_8ArrayRefIlEEKT_Lm4ENS6_16DefaultPtrTraitsEiEENS_6detail16IndexBoundsCheckILm5EiEESD_Lm5ESE_iEENS8_INS9_ISB_SC_Lm4ESE_iEESI_SC_Lm5ESE_iEESJ_iiiiiiiii,"axG",@progbits,_ZN2at6native12_GLOBAL__N_143conv_depthwise3d_cuda_backward_input_kernelIN3c104HalfEfLi3ELi3ELi3ELi1ELi1ELi1ELi1ELi1ELi1EEEvN5torch10headeronly6detail27GenericPackedTensorAccessorINS7_14TensorAccessorINS3_8ArrayRefIlEEKT_Lm4ENS6_16DefaultPtrTraitsEiEENS_6detail16IndexBoundsCheckILm5EiEESD_Lm5ESE_iEENS8_INS9_ISB_SC_Lm4ESE_iEESI_SC_Lm5ESE_iEESJ_iiiiiiiii,comdat
	.globl	_ZN2at6native12_GLOBAL__N_143conv_depthwise3d_cuda_backward_input_kernelIN3c104HalfEfLi3ELi3ELi3ELi1ELi1ELi1ELi1ELi1ELi1EEEvN5torch10headeronly6detail27GenericPackedTensorAccessorINS7_14TensorAccessorINS3_8ArrayRefIlEEKT_Lm4ENS6_16DefaultPtrTraitsEiEENS_6detail16IndexBoundsCheckILm5EiEESD_Lm5ESE_iEENS8_INS9_ISB_SC_Lm4ESE_iEESI_SC_Lm5ESE_iEESJ_iiiiiiiii ; -- Begin function _ZN2at6native12_GLOBAL__N_143conv_depthwise3d_cuda_backward_input_kernelIN3c104HalfEfLi3ELi3ELi3ELi1ELi1ELi1ELi1ELi1ELi1EEEvN5torch10headeronly6detail27GenericPackedTensorAccessorINS7_14TensorAccessorINS3_8ArrayRefIlEEKT_Lm4ENS6_16DefaultPtrTraitsEiEENS_6detail16IndexBoundsCheckILm5EiEESD_Lm5ESE_iEENS8_INS9_ISB_SC_Lm4ESE_iEESI_SC_Lm5ESE_iEESJ_iiiiiiiii
	.p2align	8
	.type	_ZN2at6native12_GLOBAL__N_143conv_depthwise3d_cuda_backward_input_kernelIN3c104HalfEfLi3ELi3ELi3ELi1ELi1ELi1ELi1ELi1ELi1EEEvN5torch10headeronly6detail27GenericPackedTensorAccessorINS7_14TensorAccessorINS3_8ArrayRefIlEEKT_Lm4ENS6_16DefaultPtrTraitsEiEENS_6detail16IndexBoundsCheckILm5EiEESD_Lm5ESE_iEENS8_INS9_ISB_SC_Lm4ESE_iEESI_SC_Lm5ESE_iEESJ_iiiiiiiii,@function
_ZN2at6native12_GLOBAL__N_143conv_depthwise3d_cuda_backward_input_kernelIN3c104HalfEfLi3ELi3ELi3ELi1ELi1ELi1ELi1ELi1ELi1EEEvN5torch10headeronly6detail27GenericPackedTensorAccessorINS7_14TensorAccessorINS3_8ArrayRefIlEEKT_Lm4ENS6_16DefaultPtrTraitsEiEENS_6detail16IndexBoundsCheckILm5EiEESD_Lm5ESE_iEENS8_INS9_ISB_SC_Lm4ESE_iEESI_SC_Lm5ESE_iEESJ_iiiiiiiii: ; @_ZN2at6native12_GLOBAL__N_143conv_depthwise3d_cuda_backward_input_kernelIN3c104HalfEfLi3ELi3ELi3ELi1ELi1ELi1ELi1ELi1ELi1EEEvN5torch10headeronly6detail27GenericPackedTensorAccessorINS7_14TensorAccessorINS3_8ArrayRefIlEEKT_Lm4ENS6_16DefaultPtrTraitsEiEENS_6detail16IndexBoundsCheckILm5EiEESD_Lm5ESE_iEENS8_INS9_ISB_SC_Lm4ESE_iEESI_SC_Lm5ESE_iEESJ_iiiiiiiii
; %bb.0:
	s_clause 0x2
	s_load_b128 s[4:7], s[0:1], 0x38
	s_load_b32 s2, s[0:1], 0xc4
	s_load_b64 s[20:21], s[0:1], 0x48
	v_mov_b32_e32 v1, 0
	s_wait_kmcnt 0x0
	s_abs_i32 s33, s5
	s_and_b32 s2, s2, 0xffff
	s_cvt_f32_u32 s3, s33
	v_mad_co_u64_u32 v[0:1], null, s2, ttmp9, v[0:1]
	s_mul_i32 s22, s21, s4
	s_delay_alu instid0(SALU_CYCLE_1) | instskip(SKIP_2) | instid1(TRANS32_DEP_1)
	v_rcp_iflag_f32_e32 v2, s3
	s_ashr_i32 s23, s22, 31
	s_mov_b32 s4, exec_lo
	v_readfirstlane_b32 s3, v2
	v_cmpx_gt_i64_e64 s[22:23], v[0:1]
	s_cbranch_execz .LBB22_62
; %bb.1:
	s_clause 0x1
	s_load_b128 s[8:11], s[0:1], 0xc
	s_load_b64 s[24:25], s[0:1], 0x0
	s_mul_f32 s3, s3, 0x4f7ffffe
	s_sub_co_i32 s4, 0, s33
	s_mov_b32 s19, 0
	s_ashr_i32 s34, s5, 31
	s_wait_alu 0xfffe
	s_cvt_u32_f32 s3, s3
	s_mov_b32 s13, s19
	v_readfirstlane_b32 s26, v2
	s_add_nc_u64 s[14:15], s[0:1], 0xb8
	s_wait_alu 0xfffe
	s_mul_i32 s12, s4, s3
	s_delay_alu instid0(SALU_CYCLE_1) | instskip(NEXT) | instid1(SALU_CYCLE_1)
	s_mul_hi_u32 s12, s3, s12
	s_add_co_i32 s12, s3, s12
	s_wait_kmcnt 0x0
	s_abs_i32 s18, s8
	s_ashr_i32 s3, s8, 31
	s_mul_u64 s[12:13], s[18:19], s[12:13]
	s_wait_alu 0xfffe
	s_xor_b32 s3, s3, s34
	s_mul_i32 s8, s13, s33
	s_add_co_i32 s12, s13, 1
	s_sub_co_i32 s8, s18, s8
	s_delay_alu instid0(SALU_CYCLE_1)
	s_sub_co_i32 s16, s8, s33
	s_cmp_ge_u32 s8, s33
	s_cselect_b32 s12, s12, s13
	s_cselect_b32 s8, s16, s8
	s_add_co_i32 s13, s12, 1
	s_cmp_ge_u32 s8, s33
	s_clause 0x1
	s_load_b96 s[16:18], s[0:1], 0x9c
	s_load_b32 s8, s[0:1], 0x7c
	s_cselect_b32 s12, s13, s12
	s_load_b32 s40, s[14:15], 0x0
	s_xor_b32 s12, s12, s3
	s_mul_f32 s13, s26, 0x4f7ffffe
	s_sub_co_i32 s35, s12, s3
	s_clause 0x1
	s_load_b64 s[26:27], s[0:1], 0x1c
	s_load_b64 s[28:29], s[0:1], 0x30
	s_cmp_gt_i32 s35, 0
	s_cvt_u32_f32 s3, s13
	s_cselect_b32 s36, -1, 0
	s_abs_i32 s37, s20
	s_abs_i32 s38, s7
	;; [unrolled: 1-line block ×3, first 2 shown]
	s_cvt_f32_u32 s12, s37
	s_cvt_f32_u32 s13, s38
	s_cvt_f32_u32 s14, s39
	s_wait_alu 0xfffe
	s_mul_i32 s4, s4, s3
	v_rcp_iflag_f32_e32 v2, s12
	v_rcp_iflag_f32_e32 v3, s13
	;; [unrolled: 1-line block ×3, first 2 shown]
	s_clause 0x1
	s_load_b64 s[30:31], s[0:1], 0x60
	s_load_b128 s[12:15], s[0:1], 0x50
	s_mul_hi_u32 s0, s3, s4
	s_wait_kmcnt 0x0
	s_mul_i32 s40, s40, s2
	s_wait_alu 0xfffe
	s_add_co_i32 s44, s3, s0
	s_sub_co_i32 s3, 0, s37
	s_sub_co_i32 s4, 0, s38
	;; [unrolled: 1-line block ×3, first 2 shown]
	v_readfirstlane_b32 s0, v2
	v_readfirstlane_b32 s1, v3
	;; [unrolled: 1-line block ×3, first 2 shown]
	s_ashr_i32 s41, s20, 31
	s_ashr_i32 s42, s7, 31
	s_mul_f32 s0, s0, 0x4f7ffffe
	s_mul_f32 s1, s1, 0x4f7ffffe
	;; [unrolled: 1-line block ×3, first 2 shown]
	s_ashr_i32 s43, s6, 31
	s_wait_alu 0xfffe
	s_cvt_u32_f32 s0, s0
	s_cvt_u32_f32 s1, s1
	;; [unrolled: 1-line block ×3, first 2 shown]
	s_mul_i32 s48, s27, s35
	s_wait_alu 0xfffe
	s_mul_i32 s3, s3, s0
	s_mul_i32 s4, s4, s1
	;; [unrolled: 1-line block ×3, first 2 shown]
	s_wait_alu 0xfffe
	s_mul_hi_u32 s3, s0, s3
	s_mul_hi_u32 s4, s1, s4
	;; [unrolled: 1-line block ×3, first 2 shown]
	s_wait_alu 0xfffe
	s_add_co_i32 s45, s0, s3
	s_add_co_i32 s46, s1, s4
	;; [unrolled: 1-line block ×3, first 2 shown]
	s_branch .LBB22_4
.LBB22_2:                               ;   in Loop: Header=BB22_4 Depth=1
	s_or_b32 exec_lo, exec_lo, s71
	s_delay_alu instid0(VALU_DEP_1)
	v_cvt_f16_f32_e32 v2, v69
.LBB22_3:                               ;   in Loop: Header=BB22_4 Depth=1
	v_mul_lo_u32 v3, v63, s21
	v_mul_lo_u32 v5, s12, v64
	;; [unrolled: 1-line block ×4, first 2 shown]
	v_add_co_u32 v0, vcc_lo, v0, s40
	s_wait_alu 0xfffd
	v_add_co_ci_u32_e64 v1, null, 0, v1, vcc_lo
	v_ashrrev_i32_e32 v4, 31, v3
	v_ashrrev_i32_e32 v6, 31, v5
	;; [unrolled: 1-line block ×3, first 2 shown]
	v_mul_lo_u32 v11, s15, v60
	v_ashrrev_i32_e32 v10, 31, v9
	v_lshlrev_b64_e32 v[3:4], 1, v[3:4]
	v_lshlrev_b64_e32 v[5:6], 1, v[5:6]
	s_delay_alu instid0(VALU_DEP_4) | instskip(NEXT) | instid1(VALU_DEP_3)
	v_ashrrev_i32_e32 v12, 31, v11
	v_add_co_u32 v13, vcc_lo, s28, v3
	s_wait_alu 0xfffd
	s_delay_alu instid0(VALU_DEP_4) | instskip(SKIP_1) | instid1(VALU_DEP_3)
	v_add_co_ci_u32_e64 v14, null, s29, v4, vcc_lo
	v_lshlrev_b64_e32 v[3:4], 1, v[7:8]
	v_add_co_u32 v7, vcc_lo, v13, v5
	s_wait_alu 0xfffd
	s_delay_alu instid0(VALU_DEP_3) | instskip(SKIP_1) | instid1(VALU_DEP_3)
	v_add_co_ci_u32_e64 v8, null, v14, v6, vcc_lo
	v_lshlrev_b64_e32 v[5:6], 1, v[9:10]
	v_add_co_u32 v7, vcc_lo, v7, v3
	s_wait_alu 0xfffd
	s_delay_alu instid0(VALU_DEP_3) | instskip(SKIP_1) | instid1(VALU_DEP_3)
	;; [unrolled: 5-line block ×3, first 2 shown]
	v_add_co_ci_u32_e64 v6, null, v8, v6, vcc_lo
	v_cmp_le_i64_e32 vcc_lo, s[22:23], v[0:1]
	v_add_co_u32 v3, s0, v5, v3
	s_wait_alu 0xf1ff
	s_delay_alu instid0(VALU_DEP_3)
	v_add_co_ci_u32_e64 v4, null, v6, v4, s0
	s_or_b32 s19, vcc_lo, s19
	global_store_b16 v[3:4], v2, off
	s_wait_alu 0xfffe
	s_and_not1_b32 exec_lo, exec_lo, s19
	s_cbranch_execz .LBB22_62
.LBB22_4:                               ; =>This Loop Header: Depth=1
                                        ;     Child Loop BB22_7 Depth 2
	v_sub_nc_u32_e32 v2, 0, v0
	s_delay_alu instid0(VALU_DEP_1) | instskip(NEXT) | instid1(VALU_DEP_1)
	v_max_i32_e32 v2, v0, v2
	v_mul_hi_u32 v3, v2, s45
	s_delay_alu instid0(VALU_DEP_1) | instskip(NEXT) | instid1(VALU_DEP_1)
	v_mul_lo_u32 v4, v3, s37
	v_sub_nc_u32_e32 v2, v2, v4
	v_add_nc_u32_e32 v4, 1, v3
	s_delay_alu instid0(VALU_DEP_2) | instskip(SKIP_2) | instid1(VALU_DEP_2)
	v_subrev_nc_u32_e32 v5, s37, v2
	v_cmp_le_u32_e32 vcc_lo, s37, v2
	s_wait_alu 0xfffd
	v_dual_cndmask_b32 v3, v3, v4 :: v_dual_cndmask_b32 v2, v2, v5
	v_ashrrev_i32_e32 v4, 31, v0
	s_delay_alu instid0(VALU_DEP_2) | instskip(NEXT) | instid1(VALU_DEP_3)
	v_add_nc_u32_e32 v5, 1, v3
	v_cmp_le_u32_e32 vcc_lo, s37, v2
	s_delay_alu instid0(VALU_DEP_3) | instskip(SKIP_1) | instid1(VALU_DEP_3)
	v_xor_b32_e32 v4, s41, v4
	s_wait_alu 0xfffd
	v_cndmask_b32_e32 v2, v3, v5, vcc_lo
	s_delay_alu instid0(VALU_DEP_1) | instskip(NEXT) | instid1(VALU_DEP_1)
	v_xor_b32_e32 v2, v2, v4
	v_sub_nc_u32_e32 v2, v2, v4
	s_delay_alu instid0(VALU_DEP_1) | instskip(NEXT) | instid1(VALU_DEP_1)
	v_sub_nc_u32_e32 v3, 0, v2
	v_max_i32_e32 v3, v2, v3
	s_delay_alu instid0(VALU_DEP_1) | instskip(NEXT) | instid1(VALU_DEP_1)
	v_mul_hi_u32 v4, v3, s46
	v_mul_lo_u32 v5, v4, s38
	s_delay_alu instid0(VALU_DEP_1) | instskip(SKIP_1) | instid1(VALU_DEP_2)
	v_sub_nc_u32_e32 v3, v3, v5
	v_add_nc_u32_e32 v5, 1, v4
	v_subrev_nc_u32_e32 v6, s38, v3
	v_cmp_le_u32_e32 vcc_lo, s38, v3
	s_wait_alu 0xfffd
	s_delay_alu instid0(VALU_DEP_2) | instskip(SKIP_1) | instid1(VALU_DEP_2)
	v_dual_cndmask_b32 v4, v4, v5 :: v_dual_cndmask_b32 v3, v3, v6
	v_ashrrev_i32_e32 v5, 31, v2
	v_add_nc_u32_e32 v6, 1, v4
	s_delay_alu instid0(VALU_DEP_3) | instskip(NEXT) | instid1(VALU_DEP_3)
	v_cmp_le_u32_e32 vcc_lo, s38, v3
	v_xor_b32_e32 v5, s42, v5
	s_wait_alu 0xfffd
	s_delay_alu instid0(VALU_DEP_3) | instskip(NEXT) | instid1(VALU_DEP_1)
	v_cndmask_b32_e32 v3, v4, v6, vcc_lo
	v_xor_b32_e32 v3, v3, v5
	s_delay_alu instid0(VALU_DEP_1) | instskip(NEXT) | instid1(VALU_DEP_1)
	v_sub_nc_u32_e32 v3, v3, v5
	v_sub_nc_u32_e32 v4, 0, v3
	s_delay_alu instid0(VALU_DEP_1) | instskip(NEXT) | instid1(VALU_DEP_1)
	v_max_i32_e32 v4, v3, v4
	v_mul_hi_u32 v5, v4, s47
	s_delay_alu instid0(VALU_DEP_1) | instskip(NEXT) | instid1(VALU_DEP_1)
	v_mul_lo_u32 v6, v5, s39
	v_sub_nc_u32_e32 v4, v4, v6
	v_add_nc_u32_e32 v6, 1, v5
	s_delay_alu instid0(VALU_DEP_2) | instskip(SKIP_2) | instid1(VALU_DEP_2)
	v_subrev_nc_u32_e32 v7, s39, v4
	v_cmp_le_u32_e32 vcc_lo, s39, v4
	s_wait_alu 0xfffd
	v_dual_cndmask_b32 v5, v5, v6 :: v_dual_cndmask_b32 v4, v4, v7
	v_ashrrev_i32_e32 v6, 31, v3
	s_delay_alu instid0(VALU_DEP_2) | instskip(NEXT) | instid1(VALU_DEP_3)
	v_add_nc_u32_e32 v7, 1, v5
	v_cmp_le_u32_e32 vcc_lo, s39, v4
	s_delay_alu instid0(VALU_DEP_3) | instskip(SKIP_1) | instid1(VALU_DEP_3)
	v_xor_b32_e32 v6, s43, v6
	s_wait_alu 0xfffd
	v_cndmask_b32_e32 v4, v5, v7, vcc_lo
	s_delay_alu instid0(VALU_DEP_1) | instskip(NEXT) | instid1(VALU_DEP_1)
	v_xor_b32_e32 v4, v4, v6
	v_sub_nc_u32_e32 v4, v4, v6
	s_delay_alu instid0(VALU_DEP_1) | instskip(NEXT) | instid1(VALU_DEP_1)
	v_sub_nc_u32_e32 v5, 0, v4
	v_max_i32_e32 v5, v4, v5
	s_delay_alu instid0(VALU_DEP_1) | instskip(NEXT) | instid1(VALU_DEP_1)
	v_mul_hi_u32 v6, v5, s44
	v_mul_lo_u32 v7, v6, s33
	s_delay_alu instid0(VALU_DEP_1) | instskip(SKIP_1) | instid1(VALU_DEP_2)
	v_sub_nc_u32_e32 v5, v5, v7
	v_add_nc_u32_e32 v7, 1, v6
	v_subrev_nc_u32_e32 v8, s33, v5
	v_cmp_le_u32_e32 vcc_lo, s33, v5
	s_wait_alu 0xfffd
	s_delay_alu instid0(VALU_DEP_2) | instskip(SKIP_1) | instid1(VALU_DEP_2)
	v_dual_cndmask_b32 v6, v6, v7 :: v_dual_cndmask_b32 v5, v5, v8
	v_ashrrev_i32_e32 v7, 31, v4
	v_add_nc_u32_e32 v8, 1, v6
	s_delay_alu instid0(VALU_DEP_3) | instskip(NEXT) | instid1(VALU_DEP_3)
	v_cmp_le_u32_e32 vcc_lo, s33, v5
	v_xor_b32_e32 v7, s34, v7
	s_wait_alu 0xfffd
	s_delay_alu instid0(VALU_DEP_3) | instskip(SKIP_2) | instid1(VALU_DEP_2)
	v_cndmask_b32_e32 v5, v6, v8, vcc_lo
	v_mul_lo_u32 v6, v3, s7
	s_and_not1_b32 vcc_lo, exec_lo, s36
	v_xor_b32_e32 v5, v5, v7
	s_delay_alu instid0(VALU_DEP_2) | instskip(NEXT) | instid1(VALU_DEP_2)
	v_sub_nc_u32_e32 v61, v2, v6
	v_sub_nc_u32_e32 v63, v5, v7
	v_mul_lo_u32 v5, v2, s20
	v_mul_lo_u32 v7, v4, s6
	s_delay_alu instid0(VALU_DEP_3) | instskip(NEXT) | instid1(VALU_DEP_3)
	v_mul_lo_u32 v8, v63, s5
	v_sub_nc_u32_e32 v60, v0, v5
	s_delay_alu instid0(VALU_DEP_3) | instskip(NEXT) | instid1(VALU_DEP_3)
	v_sub_nc_u32_e32 v62, v3, v7
	v_sub_nc_u32_e32 v64, v4, v8
	s_wait_alu 0xfffe
	s_cbranch_vccnz .LBB22_61
; %bb.5:                                ;   in Loop: Header=BB22_4 Depth=1
	s_delay_alu instid0(VALU_DEP_1) | instskip(SKIP_4) | instid1(VALU_DEP_3)
	v_mul_lo_u32 v65, v64, s35
	v_mul_lo_u32 v2, s26, v63
	v_add_nc_u32_e32 v7, s16, v62
	v_add_nc_u32_e32 v37, s17, v61
	v_dual_mov_b32 v69, 0 :: v_dual_add_nc_u32 v4, s18, v60
	v_mul_lo_u32 v21, v7, s10
	v_mul_lo_u32 v5, s8, v65
	v_ashrrev_i32_e32 v3, 31, v2
	s_delay_alu instid0(VALU_DEP_4)
	v_or_b32_e32 v8, v4, v37
	v_add_nc_u32_e32 v55, -1, v4
	v_cmp_gt_i32_e64 s0, s10, v37
	v_add_nc_u32_e32 v41, -2, v7
	v_lshlrev_b64_e32 v[2:3], 1, v[2:3]
	v_add_nc_u32_e32 v9, v37, v21
	v_ashrrev_i32_e32 v6, 31, v5
	v_add_nc_u32_e32 v23, -1, v7
	v_cmp_gt_i32_e32 vcc_lo, s9, v7
	v_add_nc_u32_e32 v57, -2, v4
	v_add_co_u32 v67, s1, s24, v2
	v_lshlrev_b64_e32 v[5:6], 1, v[5:6]
	s_wait_alu 0xf1ff
	v_add_co_ci_u32_e64 v68, null, s25, v3, s1
	v_mul_lo_u32 v10, v9, s11
	v_or_b32_e32 v9, v55, v37
	v_or_b32_e32 v42, v8, v41
	v_add_co_u32 v2, s1, s30, v5
	v_or_b32_e32 v5, v8, v7
	s_wait_alu 0xf1ff
	v_add_co_ci_u32_e64 v3, null, s31, v6, s1
	v_cmp_gt_i32_e64 s1, s11, v4
	v_or_b32_e32 v22, v8, v23
	v_cmp_lt_i32_e64 s2, -1, v5
	v_or_b32_e32 v8, v9, v7
	v_or_b32_e32 v11, v57, v37
	s_and_b32 s64, s1, s0
	v_add_nc_u32_e32 v44, -1, v37
	s_and_b32 s2, s64, s2
	v_cmp_lt_i32_e64 s3, -1, v8
	s_wait_alu 0xfffe
	s_and_b32 s49, s2, vcc_lo
	v_cmp_gt_i32_e64 s2, s11, v55
	v_or_b32_e32 v12, v11, v7
	v_or_b32_e32 v13, v4, v44
	;; [unrolled: 1-line block ×3, first 2 shown]
	v_add_nc_u32_e32 v14, v44, v21
	s_and_b32 s65, s2, s0
	v_cmp_lt_i32_e64 s4, -1, v12
	s_and_b32 s3, s65, s3
	v_or_b32_e32 v12, v13, v7
	s_wait_alu 0xfffe
	s_and_b32 s50, s3, vcc_lo
	v_cmp_gt_i32_e64 s3, s11, v57
	v_mul_lo_u32 v17, v14, s11
	v_or_b32_e32 v14, v15, v7
	v_or_b32_e32 v16, v57, v44
	v_add_nc_u32_e32 v49, -2, v37
	s_and_b32 s66, s3, s0
	v_cmp_gt_i32_e64 s0, s10, v44
	s_and_b32 s4, s66, s4
	v_or_b32_e32 v18, v16, v7
	s_wait_alu 0xfffe
	s_and_b32 s51, s4, vcc_lo
	v_cmp_lt_i32_e64 s4, -1, v12
	s_and_b32 s67, s1, s0
	s_and_b32 s68, s2, s0
	v_or_b32_e32 v24, v55, v49
	s_and_b32 s69, s3, s0
	s_and_b32 s4, s67, s4
	v_or_b32_e32 v19, v4, v49
	s_wait_alu 0xfffe
	s_and_b32 s52, s4, vcc_lo
	v_cmp_lt_i32_e64 s4, -1, v14
	v_or_b32_e32 v20, v24, v7
	v_or_b32_e32 v26, v57, v49
	;; [unrolled: 1-line block ×4, first 2 shown]
	s_and_b32 s4, s68, s4
	v_or_b32_e32 v28, v13, v23
	s_wait_alu 0xfffe
	s_and_b32 s53, s4, vcc_lo
	v_cmp_lt_i32_e64 s4, -1, v18
	v_add_nc_u32_e32 v18, v49, v21
	v_or_b32_e32 v29, v15, v23
	v_or_b32_e32 v33, v16, v23
	v_or_b32_e32 v34, v19, v23
	s_and_b32 s0, s69, s4
	v_mul_lo_u32 v30, v18, s11
	s_wait_alu 0xfffe
	s_and_b32 s54, s0, vcc_lo
	v_cmp_gt_i32_e64 s0, s10, v49
	v_or_b32_e32 v18, v19, v7
	v_or_b32_e32 v7, v26, v7
	;; [unrolled: 1-line block ×4, first 2 shown]
	s_and_b32 s70, s1, s0
	v_cmp_lt_i32_e64 s1, -1, v20
	s_and_b32 s71, s2, s0
	v_cmp_lt_i32_e64 s4, -1, v18
	s_and_b32 s72, s3, s0
	v_cmp_lt_i32_e64 s0, -1, v22
	s_and_b32 s1, s71, s1
	v_or_b32_e32 v43, v9, v41
	s_wait_alu 0xfffe
	s_and_b32 s2, s1, vcc_lo
	v_cmp_lt_i32_e64 s1, -1, v7
	s_and_b32 s4, s70, s4
	s_and_b32 s0, s64, s0
	s_wait_alu 0xfffe
	s_and_b32 s4, s4, vcc_lo
	v_subrev_nc_u32_e32 v35, s10, v21
	s_and_b32 s3, s72, s1
	v_cmp_gt_i32_e64 s1, s9, v23
	s_wait_alu 0xfffe
	s_and_b32 s3, s3, vcc_lo
	v_cmp_lt_i32_e32 vcc_lo, -1, v25
	v_or_b32_e32 v45, v11, v41
	v_subrev_nc_u32_e32 v52, s10, v35
	s_and_b32 s55, s0, s1
	v_or_b32_e32 v46, v13, v41
	s_and_b32 s0, s65, vcc_lo
	v_cmp_lt_i32_e32 vcc_lo, -1, v27
	s_wait_alu 0xfffe
	s_and_b32 s56, s0, s1
	v_cmp_lt_i32_e64 s0, -1, v28
	v_or_b32_e32 v47, v15, v41
	v_or_b32_e32 v56, v24, v41
	s_and_b32 s57, s66, vcc_lo
	v_cmp_lt_i32_e32 vcc_lo, -1, v29
	s_and_b32 s0, s67, s0
	s_and_b32 s57, s57, s1
	s_wait_alu 0xfffe
	s_and_b32 s58, s0, s1
	v_add_nc_u32_e32 v24, v37, v35
	s_and_b32 s0, s68, vcc_lo
	v_cmp_lt_i32_e32 vcc_lo, -1, v33
	s_wait_alu 0xfffe
	s_and_b32 s59, s0, s1
	v_cmp_lt_i32_e64 s0, -1, v34
	v_add_nc_u32_e32 v25, v44, v35
	v_add_nc_u32_e32 v40, v49, v35
	s_and_b32 s60, s69, vcc_lo
	v_cmp_lt_i32_e32 vcc_lo, -1, v38
	s_and_b32 s0, s70, s0
	s_and_b32 s60, s60, s1
	s_wait_alu 0xfffe
	s_and_b32 s61, s0, s1
	v_cmp_lt_i32_e64 s0, -1, v39
	s_and_b32 s62, s71, vcc_lo
	v_cmp_lt_i32_e32 vcc_lo, -1, v42
	s_and_b32 s62, s62, s1
	v_add_nc_u32_e32 v48, v37, v52
	s_and_b32 s0, s72, s0
	v_add_nc_u32_e32 v53, v44, v52
	s_wait_alu 0xfffe
	s_and_b32 s63, s0, s1
	v_cmp_gt_i32_e64 s0, s9, v41
	s_and_b32 s1, s64, vcc_lo
	v_cmp_lt_i32_e32 vcc_lo, -1, v43
	v_add_nc_u32_e32 v52, v49, v52
	v_or_b32_e32 v50, v16, v41
	s_wait_alu 0xfffe
	s_and_b32 s64, s1, s0
	v_add_nc_u32_e32 v18, v4, v30
	s_and_b32 s1, s65, vcc_lo
	v_cmp_lt_i32_e32 vcc_lo, -1, v45
	s_wait_alu 0xfffe
	s_and_b32 s65, s1, s0
	v_cmp_lt_i32_e64 s1, -1, v46
	v_add_nc_u32_e32 v20, v55, v30
	v_add_nc_u32_e32 v22, v57, v30
	s_and_b32 s66, s66, vcc_lo
	v_cmp_lt_i32_e32 vcc_lo, -1, v47
	v_mul_lo_u32 v30, v24, s11
	v_mul_lo_u32 v36, v25, s11
	;; [unrolled: 1-line block ×6, first 2 shown]
	s_and_b32 s1, s67, s1
	v_or_b32_e32 v51, v19, v41
	s_wait_alu 0xfffe
	s_and_b32 s67, s1, s0
	s_and_b32 s1, s68, vcc_lo
	v_cmp_lt_i32_e32 vcc_lo, -1, v50
	v_add_nc_u32_e32 v5, v4, v10
	v_add_nc_u32_e32 v8, v55, v10
	;; [unrolled: 1-line block ×6, first 2 shown]
	v_or_b32_e32 v7, v26, v41
	v_add_nc_u32_e32 v24, v4, v30
	v_add_nc_u32_e32 v26, v55, v30
	;; [unrolled: 1-line block ×13, first 2 shown]
	s_wait_alu 0xfffe
	s_and_b32 s68, s1, s0
	v_add_nc_u32_e32 v50, v55, v53
	v_cmp_lt_i32_e64 s1, -1, v51
	v_add_nc_u32_e32 v52, v57, v53
	s_and_b32 s69, s69, vcc_lo
	v_add_nc_u32_e32 v54, v4, v58
	v_cmp_lt_i32_e32 vcc_lo, -1, v56
	v_add_nc_u32_e32 v56, v55, v58
	v_add_nc_u32_e32 v58, v57, v58
	v_ashrrev_i32_e32 v6, 31, v5
	v_ashrrev_i32_e32 v9, 31, v8
	;; [unrolled: 1-line block ×23, first 2 shown]
	s_and_b32 s1, s70, s1
	v_ashrrev_i32_e32 v53, 31, v52
	v_ashrrev_i32_e32 v55, 31, v54
	;; [unrolled: 1-line block ×4, first 2 shown]
	s_wait_alu 0xfffe
	s_and_b32 s70, s1, s0
	v_cmp_lt_i32_e64 s1, -1, v7
	v_mul_lo_u32 v4, s48, v64
	v_lshlrev_b64_e32 v[6:7], 1, v[5:6]
	v_lshlrev_b64_e32 v[8:9], 1, v[8:9]
	;; [unrolled: 1-line block ×27, first 2 shown]
	v_add_nc_u32_e32 v66, s35, v65
	s_and_b32 s71, s71, vcc_lo
	s_and_b32 s72, s72, s1
	s_and_b32 s66, s66, s0
	;; [unrolled: 1-line block ×5, first 2 shown]
	s_mov_b32 s71, 0
	s_branch .LBB22_7
.LBB22_6:                               ;   in Loop: Header=BB22_7 Depth=2
	s_wait_alu 0xfffe
	s_or_b32 exec_lo, exec_lo, s0
	s_wait_loadcnt 0x1a
	v_fma_mix_f32 v5, v5, v70, v69 op_sel_hi:[0,1,0]
	v_add_nc_u32_e32 v65, 1, v65
	v_add_co_u32 v2, s0, v2, 54
	s_wait_alu 0xf1ff
	v_add_co_ci_u32_e64 v3, null, 0, v3, s0
	s_wait_loadcnt 0x19
	v_fma_mix_f32 v5, v75, v73, v5 op_sel_hi:[0,1,0]
	v_cmp_ge_i32_e32 vcc_lo, v65, v66
	v_add_nc_u32_e32 v4, s27, v4
	s_wait_loadcnt 0x18
	s_delay_alu instid0(VALU_DEP_3) | instskip(SKIP_2) | instid1(VALU_DEP_1)
	v_fma_mix_f32 v5, v74, v76, v5 op_sel_hi:[0,1,0]
	s_or_b32 s71, vcc_lo, s71
	s_wait_loadcnt 0x17
	v_fma_mix_f32 v5, v79, v77, v5 op_sel_hi:[0,1,0]
	s_wait_loadcnt 0x16
	s_delay_alu instid0(VALU_DEP_1) | instskip(SKIP_1) | instid1(VALU_DEP_1)
	v_fma_mix_f32 v5, v78, v80, v5 op_sel_hi:[0,1,0]
	s_wait_loadcnt 0x15
	v_fma_mix_f32 v5, v83, v81, v5 op_sel_hi:[0,1,0]
	s_wait_loadcnt 0x14
	s_delay_alu instid0(VALU_DEP_1) | instskip(SKIP_1) | instid1(VALU_DEP_1)
	v_fma_mix_f32 v5, v82, v84, v5 op_sel_hi:[0,1,0]
	;; [unrolled: 5-line block ×11, first 2 shown]
	s_wait_loadcnt 0x1
	v_fma_mix_f32 v5, v123, v121, v5 op_sel_hi:[0,1,0]
	s_wait_loadcnt 0x0
	s_delay_alu instid0(VALU_DEP_1)
	v_fma_mix_f32 v69, v122, v124, v5 op_sel_hi:[0,1,0]
	s_and_not1_b32 exec_lo, exec_lo, s71
	s_cbranch_execz .LBB22_2
.LBB22_7:                               ;   Parent Loop BB22_4 Depth=1
                                        ; =>  This Inner Loop Header: Depth=2
	global_load_u16 v70, v[2:3], off
	v_ashrrev_i32_e32 v5, 31, v4
	s_delay_alu instid0(VALU_DEP_1) | instskip(SKIP_1) | instid1(VALU_DEP_2)
	v_lshlrev_b64_e32 v[71:72], 1, v[4:5]
	v_mov_b32_e32 v5, 0
	v_add_co_u32 v71, vcc_lo, v67, v71
	s_wait_alu 0xfffd
	s_delay_alu instid0(VALU_DEP_3)
	v_add_co_ci_u32_e64 v72, null, v68, v72, vcc_lo
	s_and_saveexec_b32 s0, s49
	s_cbranch_execz .LBB22_9
; %bb.8:                                ;   in Loop: Header=BB22_7 Depth=2
	v_add_co_u32 v73, vcc_lo, v71, v6
	s_wait_alu 0xfffd
	v_add_co_ci_u32_e64 v74, null, v72, v7, vcc_lo
	global_load_u16 v5, v[73:74], off
	s_wait_loadcnt 0x0
	v_cvt_f32_f16_e32 v5, v5
.LBB22_9:                               ;   in Loop: Header=BB22_7 Depth=2
	s_wait_alu 0xfffe
	s_or_b32 exec_lo, exec_lo, s0
	global_load_u16 v73, v[2:3], off offset:2
	v_dual_mov_b32 v74, 0 :: v_dual_mov_b32 v75, 0
	s_and_saveexec_b32 s0, s50
	s_cbranch_execz .LBB22_11
; %bb.10:                               ;   in Loop: Header=BB22_7 Depth=2
	v_add_co_u32 v75, vcc_lo, v71, v8
	s_wait_alu 0xfffd
	v_add_co_ci_u32_e64 v76, null, v72, v9, vcc_lo
	global_load_u16 v75, v[75:76], off
	s_wait_loadcnt 0x0
	v_cvt_f32_f16_e32 v75, v75
.LBB22_11:                              ;   in Loop: Header=BB22_7 Depth=2
	s_wait_alu 0xfffe
	s_or_b32 exec_lo, exec_lo, s0
	global_load_u16 v76, v[2:3], off offset:4
	s_and_saveexec_b32 s0, s51
	s_cbranch_execz .LBB22_13
; %bb.12:                               ;   in Loop: Header=BB22_7 Depth=2
	v_add_co_u32 v77, vcc_lo, v71, v10
	s_wait_alu 0xfffd
	v_add_co_ci_u32_e64 v78, null, v72, v11, vcc_lo
	global_load_u16 v74, v[77:78], off
	s_wait_loadcnt 0x0
	v_cvt_f32_f16_e32 v74, v74
.LBB22_13:                              ;   in Loop: Header=BB22_7 Depth=2
	s_wait_alu 0xfffe
	s_or_b32 exec_lo, exec_lo, s0
	global_load_u16 v77, v[2:3], off offset:6
	v_dual_mov_b32 v78, 0 :: v_dual_mov_b32 v79, 0
	s_and_saveexec_b32 s0, s52
	s_cbranch_execz .LBB22_15
; %bb.14:                               ;   in Loop: Header=BB22_7 Depth=2
	v_add_co_u32 v79, vcc_lo, v71, v12
	s_wait_alu 0xfffd
	v_add_co_ci_u32_e64 v80, null, v72, v13, vcc_lo
	global_load_u16 v79, v[79:80], off
	s_wait_loadcnt 0x0
	v_cvt_f32_f16_e32 v79, v79
.LBB22_15:                              ;   in Loop: Header=BB22_7 Depth=2
	s_wait_alu 0xfffe
	s_or_b32 exec_lo, exec_lo, s0
	global_load_u16 v80, v[2:3], off offset:8
	s_and_saveexec_b32 s0, s53
	s_cbranch_execz .LBB22_17
; %bb.16:                               ;   in Loop: Header=BB22_7 Depth=2
	v_add_co_u32 v81, vcc_lo, v71, v14
	s_wait_alu 0xfffd
	v_add_co_ci_u32_e64 v82, null, v72, v15, vcc_lo
	global_load_u16 v78, v[81:82], off
	s_wait_loadcnt 0x0
	v_cvt_f32_f16_e32 v78, v78
.LBB22_17:                              ;   in Loop: Header=BB22_7 Depth=2
	;; [unrolled: 27-line block ×11, first 2 shown]
	s_wait_alu 0xfffe
	s_or_b32 exec_lo, exec_lo, s0
	global_load_u16 v118, v[2:3], off offset:46
	v_mov_b32_e32 v117, 0
	v_mov_b32_e32 v119, 0
	s_and_saveexec_b32 s0, s69
	s_cbranch_execz .LBB22_55
; %bb.54:                               ;   in Loop: Header=BB22_7 Depth=2
	v_add_co_u32 v119, vcc_lo, v71, v52
	s_wait_alu 0xfffd
	v_add_co_ci_u32_e64 v120, null, v72, v53, vcc_lo
	global_load_u16 v119, v[119:120], off
	s_wait_loadcnt 0x0
	v_cvt_f32_f16_e32 v119, v119
.LBB22_55:                              ;   in Loop: Header=BB22_7 Depth=2
	s_wait_alu 0xfffe
	s_or_b32 exec_lo, exec_lo, s0
	global_load_u16 v120, v[2:3], off offset:48
	s_and_saveexec_b32 s0, s70
	s_cbranch_execz .LBB22_57
; %bb.56:                               ;   in Loop: Header=BB22_7 Depth=2
	v_add_co_u32 v121, vcc_lo, v71, v54
	s_wait_alu 0xfffd
	v_add_co_ci_u32_e64 v122, null, v72, v55, vcc_lo
	global_load_u16 v117, v[121:122], off
	s_wait_loadcnt 0x0
	v_cvt_f32_f16_e32 v117, v117
.LBB22_57:                              ;   in Loop: Header=BB22_7 Depth=2
	s_wait_alu 0xfffe
	s_or_b32 exec_lo, exec_lo, s0
	global_load_u16 v121, v[2:3], off offset:50
	v_dual_mov_b32 v122, 0 :: v_dual_mov_b32 v123, 0
	s_and_saveexec_b32 s0, s1
	s_cbranch_execz .LBB22_59
; %bb.58:                               ;   in Loop: Header=BB22_7 Depth=2
	v_add_co_u32 v123, vcc_lo, v71, v56
	s_wait_alu 0xfffd
	v_add_co_ci_u32_e64 v124, null, v72, v57, vcc_lo
	global_load_u16 v123, v[123:124], off
	s_wait_loadcnt 0x0
	v_cvt_f32_f16_e32 v123, v123
.LBB22_59:                              ;   in Loop: Header=BB22_7 Depth=2
	s_wait_alu 0xfffe
	s_or_b32 exec_lo, exec_lo, s0
	global_load_u16 v124, v[2:3], off offset:52
	s_and_saveexec_b32 s0, s72
	s_cbranch_execz .LBB22_6
; %bb.60:                               ;   in Loop: Header=BB22_7 Depth=2
	v_add_co_u32 v71, vcc_lo, v71, v58
	s_wait_alu 0xfffd
	v_add_co_ci_u32_e64 v72, null, v72, v59, vcc_lo
	global_load_u16 v71, v[71:72], off
	s_wait_loadcnt 0x0
	v_cvt_f32_f16_e32 v122, v71
	s_branch .LBB22_6
.LBB22_61:                              ;   in Loop: Header=BB22_4 Depth=1
	v_mov_b32_e32 v2, 0
	s_branch .LBB22_3
.LBB22_62:
	s_nop 0
	s_sendmsg sendmsg(MSG_DEALLOC_VGPRS)
	s_endpgm
	.section	.rodata,"a",@progbits
	.p2align	6, 0x0
	.amdhsa_kernel _ZN2at6native12_GLOBAL__N_143conv_depthwise3d_cuda_backward_input_kernelIN3c104HalfEfLi3ELi3ELi3ELi1ELi1ELi1ELi1ELi1ELi1EEEvN5torch10headeronly6detail27GenericPackedTensorAccessorINS7_14TensorAccessorINS3_8ArrayRefIlEEKT_Lm4ENS6_16DefaultPtrTraitsEiEENS_6detail16IndexBoundsCheckILm5EiEESD_Lm5ESE_iEENS8_INS9_ISB_SC_Lm4ESE_iEESI_SC_Lm5ESE_iEESJ_iiiiiiiii
		.amdhsa_group_segment_fixed_size 0
		.amdhsa_private_segment_fixed_size 0
		.amdhsa_kernarg_size 440
		.amdhsa_user_sgpr_count 2
		.amdhsa_user_sgpr_dispatch_ptr 0
		.amdhsa_user_sgpr_queue_ptr 0
		.amdhsa_user_sgpr_kernarg_segment_ptr 1
		.amdhsa_user_sgpr_dispatch_id 0
		.amdhsa_user_sgpr_private_segment_size 0
		.amdhsa_wavefront_size32 1
		.amdhsa_uses_dynamic_stack 0
		.amdhsa_enable_private_segment 0
		.amdhsa_system_sgpr_workgroup_id_x 1
		.amdhsa_system_sgpr_workgroup_id_y 0
		.amdhsa_system_sgpr_workgroup_id_z 0
		.amdhsa_system_sgpr_workgroup_info 0
		.amdhsa_system_vgpr_workitem_id 0
		.amdhsa_next_free_vgpr 125
		.amdhsa_next_free_sgpr 73
		.amdhsa_reserve_vcc 1
		.amdhsa_float_round_mode_32 0
		.amdhsa_float_round_mode_16_64 0
		.amdhsa_float_denorm_mode_32 3
		.amdhsa_float_denorm_mode_16_64 3
		.amdhsa_fp16_overflow 0
		.amdhsa_workgroup_processor_mode 1
		.amdhsa_memory_ordered 1
		.amdhsa_forward_progress 1
		.amdhsa_inst_pref_size 40
		.amdhsa_round_robin_scheduling 0
		.amdhsa_exception_fp_ieee_invalid_op 0
		.amdhsa_exception_fp_denorm_src 0
		.amdhsa_exception_fp_ieee_div_zero 0
		.amdhsa_exception_fp_ieee_overflow 0
		.amdhsa_exception_fp_ieee_underflow 0
		.amdhsa_exception_fp_ieee_inexact 0
		.amdhsa_exception_int_div_zero 0
	.end_amdhsa_kernel
	.section	.text._ZN2at6native12_GLOBAL__N_143conv_depthwise3d_cuda_backward_input_kernelIN3c104HalfEfLi3ELi3ELi3ELi1ELi1ELi1ELi1ELi1ELi1EEEvN5torch10headeronly6detail27GenericPackedTensorAccessorINS7_14TensorAccessorINS3_8ArrayRefIlEEKT_Lm4ENS6_16DefaultPtrTraitsEiEENS_6detail16IndexBoundsCheckILm5EiEESD_Lm5ESE_iEENS8_INS9_ISB_SC_Lm4ESE_iEESI_SC_Lm5ESE_iEESJ_iiiiiiiii,"axG",@progbits,_ZN2at6native12_GLOBAL__N_143conv_depthwise3d_cuda_backward_input_kernelIN3c104HalfEfLi3ELi3ELi3ELi1ELi1ELi1ELi1ELi1ELi1EEEvN5torch10headeronly6detail27GenericPackedTensorAccessorINS7_14TensorAccessorINS3_8ArrayRefIlEEKT_Lm4ENS6_16DefaultPtrTraitsEiEENS_6detail16IndexBoundsCheckILm5EiEESD_Lm5ESE_iEENS8_INS9_ISB_SC_Lm4ESE_iEESI_SC_Lm5ESE_iEESJ_iiiiiiiii,comdat
.Lfunc_end22:
	.size	_ZN2at6native12_GLOBAL__N_143conv_depthwise3d_cuda_backward_input_kernelIN3c104HalfEfLi3ELi3ELi3ELi1ELi1ELi1ELi1ELi1ELi1EEEvN5torch10headeronly6detail27GenericPackedTensorAccessorINS7_14TensorAccessorINS3_8ArrayRefIlEEKT_Lm4ENS6_16DefaultPtrTraitsEiEENS_6detail16IndexBoundsCheckILm5EiEESD_Lm5ESE_iEENS8_INS9_ISB_SC_Lm4ESE_iEESI_SC_Lm5ESE_iEESJ_iiiiiiiii, .Lfunc_end22-_ZN2at6native12_GLOBAL__N_143conv_depthwise3d_cuda_backward_input_kernelIN3c104HalfEfLi3ELi3ELi3ELi1ELi1ELi1ELi1ELi1ELi1EEEvN5torch10headeronly6detail27GenericPackedTensorAccessorINS7_14TensorAccessorINS3_8ArrayRefIlEEKT_Lm4ENS6_16DefaultPtrTraitsEiEENS_6detail16IndexBoundsCheckILm5EiEESD_Lm5ESE_iEENS8_INS9_ISB_SC_Lm4ESE_iEESI_SC_Lm5ESE_iEESJ_iiiiiiiii
                                        ; -- End function
	.set _ZN2at6native12_GLOBAL__N_143conv_depthwise3d_cuda_backward_input_kernelIN3c104HalfEfLi3ELi3ELi3ELi1ELi1ELi1ELi1ELi1ELi1EEEvN5torch10headeronly6detail27GenericPackedTensorAccessorINS7_14TensorAccessorINS3_8ArrayRefIlEEKT_Lm4ENS6_16DefaultPtrTraitsEiEENS_6detail16IndexBoundsCheckILm5EiEESD_Lm5ESE_iEENS8_INS9_ISB_SC_Lm4ESE_iEESI_SC_Lm5ESE_iEESJ_iiiiiiiii.num_vgpr, 125
	.set _ZN2at6native12_GLOBAL__N_143conv_depthwise3d_cuda_backward_input_kernelIN3c104HalfEfLi3ELi3ELi3ELi1ELi1ELi1ELi1ELi1ELi1EEEvN5torch10headeronly6detail27GenericPackedTensorAccessorINS7_14TensorAccessorINS3_8ArrayRefIlEEKT_Lm4ENS6_16DefaultPtrTraitsEiEENS_6detail16IndexBoundsCheckILm5EiEESD_Lm5ESE_iEENS8_INS9_ISB_SC_Lm4ESE_iEESI_SC_Lm5ESE_iEESJ_iiiiiiiii.num_agpr, 0
	.set _ZN2at6native12_GLOBAL__N_143conv_depthwise3d_cuda_backward_input_kernelIN3c104HalfEfLi3ELi3ELi3ELi1ELi1ELi1ELi1ELi1ELi1EEEvN5torch10headeronly6detail27GenericPackedTensorAccessorINS7_14TensorAccessorINS3_8ArrayRefIlEEKT_Lm4ENS6_16DefaultPtrTraitsEiEENS_6detail16IndexBoundsCheckILm5EiEESD_Lm5ESE_iEENS8_INS9_ISB_SC_Lm4ESE_iEESI_SC_Lm5ESE_iEESJ_iiiiiiiii.numbered_sgpr, 73
	.set _ZN2at6native12_GLOBAL__N_143conv_depthwise3d_cuda_backward_input_kernelIN3c104HalfEfLi3ELi3ELi3ELi1ELi1ELi1ELi1ELi1ELi1EEEvN5torch10headeronly6detail27GenericPackedTensorAccessorINS7_14TensorAccessorINS3_8ArrayRefIlEEKT_Lm4ENS6_16DefaultPtrTraitsEiEENS_6detail16IndexBoundsCheckILm5EiEESD_Lm5ESE_iEENS8_INS9_ISB_SC_Lm4ESE_iEESI_SC_Lm5ESE_iEESJ_iiiiiiiii.num_named_barrier, 0
	.set _ZN2at6native12_GLOBAL__N_143conv_depthwise3d_cuda_backward_input_kernelIN3c104HalfEfLi3ELi3ELi3ELi1ELi1ELi1ELi1ELi1ELi1EEEvN5torch10headeronly6detail27GenericPackedTensorAccessorINS7_14TensorAccessorINS3_8ArrayRefIlEEKT_Lm4ENS6_16DefaultPtrTraitsEiEENS_6detail16IndexBoundsCheckILm5EiEESD_Lm5ESE_iEENS8_INS9_ISB_SC_Lm4ESE_iEESI_SC_Lm5ESE_iEESJ_iiiiiiiii.private_seg_size, 0
	.set _ZN2at6native12_GLOBAL__N_143conv_depthwise3d_cuda_backward_input_kernelIN3c104HalfEfLi3ELi3ELi3ELi1ELi1ELi1ELi1ELi1ELi1EEEvN5torch10headeronly6detail27GenericPackedTensorAccessorINS7_14TensorAccessorINS3_8ArrayRefIlEEKT_Lm4ENS6_16DefaultPtrTraitsEiEENS_6detail16IndexBoundsCheckILm5EiEESD_Lm5ESE_iEENS8_INS9_ISB_SC_Lm4ESE_iEESI_SC_Lm5ESE_iEESJ_iiiiiiiii.uses_vcc, 1
	.set _ZN2at6native12_GLOBAL__N_143conv_depthwise3d_cuda_backward_input_kernelIN3c104HalfEfLi3ELi3ELi3ELi1ELi1ELi1ELi1ELi1ELi1EEEvN5torch10headeronly6detail27GenericPackedTensorAccessorINS7_14TensorAccessorINS3_8ArrayRefIlEEKT_Lm4ENS6_16DefaultPtrTraitsEiEENS_6detail16IndexBoundsCheckILm5EiEESD_Lm5ESE_iEENS8_INS9_ISB_SC_Lm4ESE_iEESI_SC_Lm5ESE_iEESJ_iiiiiiiii.uses_flat_scratch, 0
	.set _ZN2at6native12_GLOBAL__N_143conv_depthwise3d_cuda_backward_input_kernelIN3c104HalfEfLi3ELi3ELi3ELi1ELi1ELi1ELi1ELi1ELi1EEEvN5torch10headeronly6detail27GenericPackedTensorAccessorINS7_14TensorAccessorINS3_8ArrayRefIlEEKT_Lm4ENS6_16DefaultPtrTraitsEiEENS_6detail16IndexBoundsCheckILm5EiEESD_Lm5ESE_iEENS8_INS9_ISB_SC_Lm4ESE_iEESI_SC_Lm5ESE_iEESJ_iiiiiiiii.has_dyn_sized_stack, 0
	.set _ZN2at6native12_GLOBAL__N_143conv_depthwise3d_cuda_backward_input_kernelIN3c104HalfEfLi3ELi3ELi3ELi1ELi1ELi1ELi1ELi1ELi1EEEvN5torch10headeronly6detail27GenericPackedTensorAccessorINS7_14TensorAccessorINS3_8ArrayRefIlEEKT_Lm4ENS6_16DefaultPtrTraitsEiEENS_6detail16IndexBoundsCheckILm5EiEESD_Lm5ESE_iEENS8_INS9_ISB_SC_Lm4ESE_iEESI_SC_Lm5ESE_iEESJ_iiiiiiiii.has_recursion, 0
	.set _ZN2at6native12_GLOBAL__N_143conv_depthwise3d_cuda_backward_input_kernelIN3c104HalfEfLi3ELi3ELi3ELi1ELi1ELi1ELi1ELi1ELi1EEEvN5torch10headeronly6detail27GenericPackedTensorAccessorINS7_14TensorAccessorINS3_8ArrayRefIlEEKT_Lm4ENS6_16DefaultPtrTraitsEiEENS_6detail16IndexBoundsCheckILm5EiEESD_Lm5ESE_iEENS8_INS9_ISB_SC_Lm4ESE_iEESI_SC_Lm5ESE_iEESJ_iiiiiiiii.has_indirect_call, 0
	.section	.AMDGPU.csdata,"",@progbits
; Kernel info:
; codeLenInByte = 5048
; TotalNumSgprs: 75
; NumVgprs: 125
; ScratchSize: 0
; MemoryBound: 0
; FloatMode: 240
; IeeeMode: 1
; LDSByteSize: 0 bytes/workgroup (compile time only)
; SGPRBlocks: 0
; VGPRBlocks: 15
; NumSGPRsForWavesPerEU: 75
; NumVGPRsForWavesPerEU: 125
; Occupancy: 10
; WaveLimiterHint : 0
; COMPUTE_PGM_RSRC2:SCRATCH_EN: 0
; COMPUTE_PGM_RSRC2:USER_SGPR: 2
; COMPUTE_PGM_RSRC2:TRAP_HANDLER: 0
; COMPUTE_PGM_RSRC2:TGID_X_EN: 1
; COMPUTE_PGM_RSRC2:TGID_Y_EN: 0
; COMPUTE_PGM_RSRC2:TGID_Z_EN: 0
; COMPUTE_PGM_RSRC2:TIDIG_COMP_CNT: 0
	.section	.text._ZN2at6native12_GLOBAL__N_143conv_depthwise3d_cuda_backward_input_kernelIN3c104HalfEfLi3ELi3ELi3ELi1ELi1ELi1ELin1ELin1ELin1EEEvN5torch10headeronly6detail27GenericPackedTensorAccessorINS7_14TensorAccessorINS3_8ArrayRefIlEEKT_Lm4ENS6_16DefaultPtrTraitsEiEENS_6detail16IndexBoundsCheckILm5EiEESD_Lm5ESE_iEENS8_INS9_ISB_SC_Lm4ESE_iEESI_SC_Lm5ESE_iEESJ_iiiiiiiii,"axG",@progbits,_ZN2at6native12_GLOBAL__N_143conv_depthwise3d_cuda_backward_input_kernelIN3c104HalfEfLi3ELi3ELi3ELi1ELi1ELi1ELin1ELin1ELin1EEEvN5torch10headeronly6detail27GenericPackedTensorAccessorINS7_14TensorAccessorINS3_8ArrayRefIlEEKT_Lm4ENS6_16DefaultPtrTraitsEiEENS_6detail16IndexBoundsCheckILm5EiEESD_Lm5ESE_iEENS8_INS9_ISB_SC_Lm4ESE_iEESI_SC_Lm5ESE_iEESJ_iiiiiiiii,comdat
	.globl	_ZN2at6native12_GLOBAL__N_143conv_depthwise3d_cuda_backward_input_kernelIN3c104HalfEfLi3ELi3ELi3ELi1ELi1ELi1ELin1ELin1ELin1EEEvN5torch10headeronly6detail27GenericPackedTensorAccessorINS7_14TensorAccessorINS3_8ArrayRefIlEEKT_Lm4ENS6_16DefaultPtrTraitsEiEENS_6detail16IndexBoundsCheckILm5EiEESD_Lm5ESE_iEENS8_INS9_ISB_SC_Lm4ESE_iEESI_SC_Lm5ESE_iEESJ_iiiiiiiii ; -- Begin function _ZN2at6native12_GLOBAL__N_143conv_depthwise3d_cuda_backward_input_kernelIN3c104HalfEfLi3ELi3ELi3ELi1ELi1ELi1ELin1ELin1ELin1EEEvN5torch10headeronly6detail27GenericPackedTensorAccessorINS7_14TensorAccessorINS3_8ArrayRefIlEEKT_Lm4ENS6_16DefaultPtrTraitsEiEENS_6detail16IndexBoundsCheckILm5EiEESD_Lm5ESE_iEENS8_INS9_ISB_SC_Lm4ESE_iEESI_SC_Lm5ESE_iEESJ_iiiiiiiii
	.p2align	8
	.type	_ZN2at6native12_GLOBAL__N_143conv_depthwise3d_cuda_backward_input_kernelIN3c104HalfEfLi3ELi3ELi3ELi1ELi1ELi1ELin1ELin1ELin1EEEvN5torch10headeronly6detail27GenericPackedTensorAccessorINS7_14TensorAccessorINS3_8ArrayRefIlEEKT_Lm4ENS6_16DefaultPtrTraitsEiEENS_6detail16IndexBoundsCheckILm5EiEESD_Lm5ESE_iEENS8_INS9_ISB_SC_Lm4ESE_iEESI_SC_Lm5ESE_iEESJ_iiiiiiiii,@function
_ZN2at6native12_GLOBAL__N_143conv_depthwise3d_cuda_backward_input_kernelIN3c104HalfEfLi3ELi3ELi3ELi1ELi1ELi1ELin1ELin1ELin1EEEvN5torch10headeronly6detail27GenericPackedTensorAccessorINS7_14TensorAccessorINS3_8ArrayRefIlEEKT_Lm4ENS6_16DefaultPtrTraitsEiEENS_6detail16IndexBoundsCheckILm5EiEESD_Lm5ESE_iEENS8_INS9_ISB_SC_Lm4ESE_iEESI_SC_Lm5ESE_iEESJ_iiiiiiiii: ; @_ZN2at6native12_GLOBAL__N_143conv_depthwise3d_cuda_backward_input_kernelIN3c104HalfEfLi3ELi3ELi3ELi1ELi1ELi1ELin1ELin1ELin1EEEvN5torch10headeronly6detail27GenericPackedTensorAccessorINS7_14TensorAccessorINS3_8ArrayRefIlEEKT_Lm4ENS6_16DefaultPtrTraitsEiEENS_6detail16IndexBoundsCheckILm5EiEESD_Lm5ESE_iEENS8_INS9_ISB_SC_Lm4ESE_iEESI_SC_Lm5ESE_iEESJ_iiiiiiiii
; %bb.0:
	s_clause 0x2
	s_load_b128 s[44:47], s[0:1], 0x38
	s_load_b32 s2, s[0:1], 0xc4
	s_load_b64 s[60:61], s[0:1], 0x48
	v_mov_b32_e32 v1, 0
                                        ; implicit-def: $vgpr125 : SGPR spill to VGPR lane
	s_wait_kmcnt 0x0
	s_abs_i32 s76, s45
	s_and_b32 s2, s2, 0xffff
	s_cvt_f32_u32 s3, s76
	v_mad_co_u64_u32 v[0:1], null, s2, ttmp9, v[0:1]
	s_mul_i32 s4, s61, s44
	s_delay_alu instid0(SALU_CYCLE_1) | instskip(SKIP_4) | instid1(TRANS32_DEP_1)
	v_rcp_iflag_f32_e32 v2, s3
	s_ashr_i32 s5, s4, 31
	v_writelane_b32 v125, s4, 0
	v_cmp_gt_i64_e32 vcc_lo, s[4:5], v[0:1]
	v_writelane_b32 v125, s5, 1
	v_readfirstlane_b32 s3, v2
	s_and_saveexec_b32 s4, vcc_lo
	s_cbranch_execz .LBB23_62
; %bb.1:
	s_clause 0x1
	s_load_b128 s[48:51], s[0:1], 0xc
	s_load_b64 s[66:67], s[0:1], 0x0
	s_mul_f32 s3, s3, 0x4f7ffffe
	s_sub_co_i32 s8, 0, s76
	s_add_nc_u64 s[6:7], s[0:1], 0xb8
	s_mov_b32 s65, 0
	s_wait_alu 0xfffe
	s_cvt_u32_f32 s3, s3
	s_mov_b32 s5, s65
	s_ashr_i32 s9, s45, 31
	s_wait_alu 0xfffe
	s_mul_i32 s4, s8, s3
	v_writelane_b32 v125, s9, 2
	s_wait_alu 0xfffe
	s_mul_hi_u32 s4, s3, s4
	s_wait_alu 0xfffe
	s_add_co_i32 s4, s3, s4
	s_load_b64 s[68:69], s[0:1], 0xa0
	s_load_b32 s3, s[6:7], 0x0
	s_clause 0x5
	s_load_b128 s[52:55], s[0:1], 0x90
	s_load_b32 s10, s[0:1], 0x7c
	s_load_b64 s[70:71], s[0:1], 0x1c
	s_load_b64 s[72:73], s[0:1], 0x30
	;; [unrolled: 1-line block ×3, first 2 shown]
	s_load_b128 s[56:59], s[0:1], 0x50
	s_wait_kmcnt 0x0
	s_abs_i32 s64, s48
	s_delay_alu instid0(SALU_CYCLE_1)
	s_mul_u64 s[4:5], s[64:65], s[4:5]
	s_ashr_i32 s4, s48, 31
	s_wait_alu 0xfffe
	s_mul_i32 s6, s5, s76
	s_xor_b32 s4, s4, s9
	s_sub_co_i32 s6, s64, s6
	s_add_co_i32 s7, s5, 1
	s_sub_co_i32 s9, s6, s76
	s_cmp_ge_u32 s6, s76
	s_cselect_b32 s5, s7, s5
	s_wait_alu 0xfffe
	s_cselect_b32 s6, s9, s6
	s_add_co_i32 s7, s5, 1
	s_cmp_ge_u32 s6, s76
	s_mul_i32 s1, s3, s2
	v_writelane_b32 v125, s10, 3
	s_cselect_b32 s5, s7, s5
	v_readfirstlane_b32 s6, v2
	s_wait_alu 0xfffe
	s_xor_b32 s5, s5, s4
	s_wait_alu 0xfffe
	s_sub_co_i32 s64, s5, s4
	v_writelane_b32 v125, s1, 4
	s_cmp_gt_i32 s64, 0
	s_mul_f32 s0, s6, 0x4f7ffffe
	s_cselect_b32 s1, -1, 0
	s_abs_i32 s81, s60
	s_wait_alu 0xfffe
	v_writelane_b32 v125, s1, 5
	s_ashr_i32 s1, s60, 31
	s_abs_i32 s83, s47
	s_abs_i32 s85, s46
	s_cvt_f32_u32 s2, s83
	s_wait_alu 0xfffe
	v_writelane_b32 v125, s1, 6
	s_ashr_i32 s1, s47, 31
	s_abs_i32 s86, s52
	v_rcp_iflag_f32_e32 v3, s2
	s_cvt_f32_u32 s3, s85
	s_wait_alu 0xfffe
	v_writelane_b32 v125, s1, 7
	s_ashr_i32 s1, s46, 31
	s_sub_co_i32 s2, 0, s81
	v_rcp_iflag_f32_e32 v4, s3
	s_abs_i32 s87, s53
	s_wait_alu 0xfffe
	v_writelane_b32 v125, s1, 8
	s_cvt_f32_u32 s1, s81
	s_sub_co_i32 s3, 0, s83
	v_readfirstlane_b32 s5, v3
	s_abs_i32 s88, s54
	s_wait_alu 0xfffe
	v_rcp_iflag_f32_e32 v2, s1
	s_cvt_f32_u32 s1, s86
	s_cvt_f32_u32 s7, s87
	v_readfirstlane_b32 s6, v4
	s_mul_f32 s5, s5, 0x4f7ffffe
	s_wait_alu 0xfffe
	v_rcp_iflag_f32_e32 v5, s1
	s_cvt_f32_u32 s9, s88
	s_sub_co_i32 s4, 0, s85
	s_cvt_u32_f32 s5, s5
	s_mul_f32 s6, s6, 0x4f7ffffe
	v_readfirstlane_b32 s1, v2
	v_rcp_iflag_f32_e32 v2, s7
	s_wait_alu 0xfffe
	s_mul_i32 s3, s3, s5
	s_cvt_u32_f32 s6, s6
	s_wait_alu 0xfffe
	s_mul_hi_u32 s3, s5, s3
	s_mul_f32 s1, s1, 0x4f7ffffe
	v_readfirstlane_b32 s7, v5
	s_mul_i32 s4, s4, s6
	s_cvt_u32_f32 s0, s0
	s_wait_alu 0xfffe
	s_cvt_u32_f32 s1, s1
	v_rcp_iflag_f32_e32 v3, s9
	s_ashr_i32 s93, s52, 31
	s_mul_i32 s8, s8, s0
	s_wait_alu 0xfffe
	s_mul_i32 s2, s2, s1
	s_ashr_i32 s95, s53, 31
	s_wait_alu 0xfffe
	s_mul_hi_u32 s2, s1, s2
	s_ashr_i32 s97, s54, 31
	s_wait_alu 0xfffe
	s_add_co_i32 s1, s1, s2
	s_mul_f32 s2, s7, 0x4f7ffffe
	s_wait_alu 0xfffe
	v_writelane_b32 v125, s1, 9
	s_add_co_i32 s1, s5, s3
	s_sub_co_i32 s3, 0, s86
	s_cvt_u32_f32 s2, s2
	s_wait_alu 0xfffe
	v_writelane_b32 v125, s1, 10
	s_mul_hi_u32 s1, s6, s4
	v_readfirstlane_b32 s4, v2
	s_wait_alu 0xfffe
	s_add_co_i32 s1, s6, s1
	s_mul_i32 s3, s3, s2
	s_wait_alu 0xfffe
	v_writelane_b32 v125, s1, 11
	s_mul_hi_u32 s1, s0, s8
	s_wait_alu 0xfffe
	s_add_co_i32 s0, s0, s1
	s_mul_hi_u32 s1, s2, s3
	s_wait_alu 0xfffe
	v_writelane_b32 v125, s0, 12
	v_readfirstlane_b32 s0, v3
	s_mul_f32 s3, s4, 0x4f7ffffe
	s_add_co_i32 s94, s2, s1
	s_sub_co_i32 s2, 0, s87
	s_mul_f32 s0, s0, 0x4f7ffffe
	s_wait_alu 0xfffe
	s_cvt_u32_f32 s1, s3
	s_sub_co_i32 s3, 0, s88
	s_cvt_u32_f32 s0, s0
	s_wait_alu 0xfffe
	s_mul_i32 s2, s2, s1
	s_wait_alu 0xfffe
	s_mul_hi_u32 s2, s1, s2
	s_mul_i32 s3, s3, s0
	s_wait_alu 0xfffe
	s_add_co_i32 s96, s1, s2
	s_mul_hi_u32 s1, s0, s3
	s_wait_alu 0xfffe
	s_add_co_i32 s98, s0, s1
	s_branch .LBB23_4
.LBB23_2:                               ;   in Loop: Header=BB23_4 Depth=1
	s_or_b32 exec_lo, exec_lo, s99
	v_cvt_f16_f32_e32 v2, v69
.LBB23_3:                               ;   in Loop: Header=BB23_4 Depth=1
	v_mul_lo_u32 v3, v63, s61
	v_mul_lo_u32 v5, s56, v64
	;; [unrolled: 1-line block ×3, first 2 shown]
	v_readlane_b32 s0, v125, 4
	v_mul_lo_u32 v9, s58, v61
	v_mul_lo_u32 v11, s59, v60
	s_wait_alu 0xf1ff
	s_delay_alu instid0(VALU_DEP_3)
	v_add_co_u32 v0, vcc_lo, v0, s0
	v_ashrrev_i32_e32 v4, 31, v3
	v_ashrrev_i32_e32 v6, 31, v5
	;; [unrolled: 1-line block ×3, first 2 shown]
	s_wait_alu 0xfffd
	v_add_co_ci_u32_e64 v1, null, 0, v1, vcc_lo
	v_lshlrev_b64_e32 v[3:4], 1, v[3:4]
	v_lshlrev_b64_e32 v[5:6], 1, v[5:6]
	v_ashrrev_i32_e32 v10, 31, v9
	v_ashrrev_i32_e32 v12, 31, v11
	v_readlane_b32 s0, v125, 0
	v_readlane_b32 s1, v125, 1
	v_add_co_u32 v13, vcc_lo, s72, v3
	s_wait_alu 0xfffd
	v_add_co_ci_u32_e64 v14, null, s73, v4, vcc_lo
	v_lshlrev_b64_e32 v[3:4], 1, v[7:8]
	s_delay_alu instid0(VALU_DEP_3) | instskip(SKIP_1) | instid1(VALU_DEP_3)
	v_add_co_u32 v7, vcc_lo, v13, v5
	s_wait_alu 0xfffd
	v_add_co_ci_u32_e64 v8, null, v14, v6, vcc_lo
	v_lshlrev_b64_e32 v[5:6], 1, v[9:10]
	s_delay_alu instid0(VALU_DEP_3) | instskip(SKIP_1) | instid1(VALU_DEP_3)
	;; [unrolled: 5-line block ×3, first 2 shown]
	v_add_co_u32 v5, vcc_lo, v7, v5
	s_wait_alu 0xfffd
	v_add_co_ci_u32_e64 v6, null, v8, v6, vcc_lo
	s_wait_alu 0xf1ff
	v_cmp_le_i64_e32 vcc_lo, s[0:1], v[0:1]
	v_add_co_u32 v3, s0, v5, v3
	s_wait_alu 0xf1ff
	v_add_co_ci_u32_e64 v4, null, v6, v4, s0
	s_or_b32 s65, vcc_lo, s65
	global_store_b16 v[3:4], v2, off
	s_wait_alu 0xfffe
	s_and_not1_b32 exec_lo, exec_lo, s65
	s_cbranch_execz .LBB23_62
.LBB23_4:                               ; =>This Loop Header: Depth=1
                                        ;     Child Loop BB23_7 Depth 2
	v_sub_nc_u32_e32 v2, 0, v0
	v_readlane_b32 s0, v125, 9
	s_delay_alu instid0(VALU_DEP_2) | instskip(SKIP_1) | instid1(VALU_DEP_1)
	v_max_i32_e32 v2, v0, v2
	s_wait_alu 0xf1ff
	v_mul_hi_u32 v3, v2, s0
	v_readlane_b32 s0, v125, 6
	s_delay_alu instid0(VALU_DEP_2) | instskip(NEXT) | instid1(VALU_DEP_1)
	v_mul_lo_u32 v4, v3, s81
	v_sub_nc_u32_e32 v2, v2, v4
	v_add_nc_u32_e32 v4, 1, v3
	s_delay_alu instid0(VALU_DEP_2) | instskip(SKIP_2) | instid1(VALU_DEP_2)
	v_subrev_nc_u32_e32 v5, s81, v2
	v_cmp_le_u32_e32 vcc_lo, s81, v2
	s_wait_alu 0xfffd
	v_dual_cndmask_b32 v3, v3, v4 :: v_dual_cndmask_b32 v2, v2, v5
	v_ashrrev_i32_e32 v4, 31, v0
	s_delay_alu instid0(VALU_DEP_2) | instskip(NEXT) | instid1(VALU_DEP_3)
	v_add_nc_u32_e32 v5, 1, v3
	v_cmp_le_u32_e32 vcc_lo, s81, v2
	s_wait_alu 0xf1ff
	s_delay_alu instid0(VALU_DEP_3) | instskip(SKIP_3) | instid1(VALU_DEP_1)
	v_xor_b32_e32 v4, s0, v4
	v_readlane_b32 s0, v125, 10
	s_wait_alu 0xfffd
	v_cndmask_b32_e32 v2, v3, v5, vcc_lo
	v_xor_b32_e32 v2, v2, v4
	s_delay_alu instid0(VALU_DEP_1) | instskip(NEXT) | instid1(VALU_DEP_1)
	v_sub_nc_u32_e32 v2, v2, v4
	v_sub_nc_u32_e32 v3, 0, v2
	s_delay_alu instid0(VALU_DEP_1) | instskip(SKIP_1) | instid1(VALU_DEP_1)
	v_max_i32_e32 v3, v2, v3
	s_wait_alu 0xf1ff
	v_mul_hi_u32 v4, v3, s0
	v_readlane_b32 s0, v125, 7
	s_delay_alu instid0(VALU_DEP_2) | instskip(NEXT) | instid1(VALU_DEP_1)
	v_mul_lo_u32 v5, v4, s83
	v_sub_nc_u32_e32 v3, v3, v5
	v_add_nc_u32_e32 v5, 1, v4
	s_delay_alu instid0(VALU_DEP_2) | instskip(SKIP_2) | instid1(VALU_DEP_2)
	v_subrev_nc_u32_e32 v6, s83, v3
	v_cmp_le_u32_e32 vcc_lo, s83, v3
	s_wait_alu 0xfffd
	v_dual_cndmask_b32 v4, v4, v5 :: v_dual_cndmask_b32 v3, v3, v6
	v_ashrrev_i32_e32 v5, 31, v2
	s_delay_alu instid0(VALU_DEP_2) | instskip(NEXT) | instid1(VALU_DEP_3)
	v_add_nc_u32_e32 v6, 1, v4
	v_cmp_le_u32_e32 vcc_lo, s83, v3
	s_wait_alu 0xf1ff
	s_delay_alu instid0(VALU_DEP_3) | instskip(SKIP_3) | instid1(VALU_DEP_1)
	v_xor_b32_e32 v5, s0, v5
	v_readlane_b32 s0, v125, 11
	s_wait_alu 0xfffd
	v_cndmask_b32_e32 v3, v4, v6, vcc_lo
	v_xor_b32_e32 v3, v3, v5
	s_delay_alu instid0(VALU_DEP_1) | instskip(NEXT) | instid1(VALU_DEP_1)
	v_sub_nc_u32_e32 v3, v3, v5
	v_sub_nc_u32_e32 v4, 0, v3
	s_delay_alu instid0(VALU_DEP_1) | instskip(SKIP_1) | instid1(VALU_DEP_1)
	;; [unrolled: 28-line block ×3, first 2 shown]
	v_max_i32_e32 v5, v4, v5
	s_wait_alu 0xf1ff
	v_mul_hi_u32 v6, v5, s0
	v_readlane_b32 s0, v125, 2
	s_delay_alu instid0(VALU_DEP_2) | instskip(NEXT) | instid1(VALU_DEP_1)
	v_mul_lo_u32 v7, v6, s76
	v_sub_nc_u32_e32 v5, v5, v7
	v_add_nc_u32_e32 v7, 1, v6
	s_delay_alu instid0(VALU_DEP_2) | instskip(SKIP_2) | instid1(VALU_DEP_2)
	v_subrev_nc_u32_e32 v8, s76, v5
	v_cmp_le_u32_e32 vcc_lo, s76, v5
	s_wait_alu 0xfffd
	v_dual_cndmask_b32 v6, v6, v7 :: v_dual_cndmask_b32 v5, v5, v8
	v_ashrrev_i32_e32 v7, 31, v4
	s_delay_alu instid0(VALU_DEP_2) | instskip(NEXT) | instid1(VALU_DEP_3)
	v_add_nc_u32_e32 v8, 1, v6
	v_cmp_le_u32_e32 vcc_lo, s76, v5
	s_wait_alu 0xf1ff
	s_delay_alu instid0(VALU_DEP_3)
	v_xor_b32_e32 v7, s0, v7
	v_readlane_b32 s0, v125, 5
	s_wait_alu 0xfffd
	v_cndmask_b32_e32 v5, v6, v8, vcc_lo
	v_mul_lo_u32 v6, v3, s47
	s_and_not1_b32 vcc_lo, exec_lo, s0
	s_delay_alu instid0(VALU_DEP_2) | instskip(NEXT) | instid1(VALU_DEP_2)
	v_xor_b32_e32 v5, v5, v7
	v_sub_nc_u32_e32 v61, v2, v6
	s_delay_alu instid0(VALU_DEP_2) | instskip(SKIP_2) | instid1(VALU_DEP_3)
	v_sub_nc_u32_e32 v63, v5, v7
	v_mul_lo_u32 v5, v2, s60
	v_mul_lo_u32 v7, v4, s46
	;; [unrolled: 1-line block ×3, first 2 shown]
	s_delay_alu instid0(VALU_DEP_3) | instskip(NEXT) | instid1(VALU_DEP_3)
	v_sub_nc_u32_e32 v60, v0, v5
	v_sub_nc_u32_e32 v62, v3, v7
	s_delay_alu instid0(VALU_DEP_3)
	v_sub_nc_u32_e32 v64, v4, v8
	s_wait_alu 0xfffe
	s_cbranch_vccnz .LBB23_61
; %bb.5:                                ;   in Loop: Header=BB23_4 Depth=1
	v_add_nc_u32_e32 v6, s69, v60
	v_add_nc_u32_e32 v15, s68, v61
	v_mul_lo_u32 v65, v64, s64
	v_readlane_b32 s0, v125, 3
	s_mov_b32 s99, 0
	v_sub_nc_u32_e32 v2, 0, v6
	v_sub_nc_u32_e32 v3, 1, v6
	s_delay_alu instid0(VALU_DEP_2) | instskip(NEXT) | instid1(VALU_DEP_1)
	v_max_i32_e32 v2, v6, v2
	v_mul_hi_u32 v4, v2, s98
	s_delay_alu instid0(VALU_DEP_1) | instskip(NEXT) | instid1(VALU_DEP_1)
	v_mul_lo_u32 v8, v4, s88
	v_sub_nc_u32_e32 v8, v2, v8
	s_wait_alu 0xf1ff
	v_mul_lo_u32 v2, s0, v65
	s_delay_alu instid0(VALU_DEP_2) | instskip(SKIP_2) | instid1(VALU_DEP_1)
	v_cmp_le_u32_e32 vcc_lo, s88, v8
	v_add_nc_u32_e32 v13, 1, v4
	s_wait_alu 0xfffd
	v_dual_cndmask_b32 v4, v4, v13 :: v_dual_add_nc_u32 v7, -1, v6
	s_delay_alu instid0(VALU_DEP_1) | instskip(SKIP_1) | instid1(VALU_DEP_2)
	v_max_i32_e32 v3, v7, v3
	v_ashrrev_i32_e32 v14, 31, v7
	v_mul_hi_u32 v5, v3, s98
	s_delay_alu instid0(VALU_DEP_1) | instskip(NEXT) | instid1(VALU_DEP_1)
	v_mul_lo_u32 v9, v5, s88
	v_sub_nc_u32_e32 v3, v3, v9
	v_subrev_nc_u32_e32 v9, s88, v8
	s_delay_alu instid0(VALU_DEP_2) | instskip(NEXT) | instid1(VALU_DEP_2)
	v_subrev_nc_u32_e32 v13, s88, v3
	v_cndmask_b32_e32 v8, v8, v9, vcc_lo
	v_add_nc_u32_e32 v9, 1, v5
	v_cmp_le_u32_e32 vcc_lo, s88, v3
	s_wait_alu 0xfffd
	v_cndmask_b32_e32 v13, v3, v13, vcc_lo
	v_sub_nc_u32_e32 v12, 2, v6
	v_add_nc_u32_e32 v3, 1, v4
	v_cndmask_b32_e32 v5, v5, v9, vcc_lo
	v_cmp_le_u32_e32 vcc_lo, s88, v8
	v_add_nc_u32_e32 v11, -2, v6
	v_ashrrev_i32_e32 v10, 31, v6
	v_xor_b32_e32 v8, s97, v14
	v_add_nc_u32_e32 v14, 1, v5
	s_wait_alu 0xfffd
	v_cndmask_b32_e32 v4, v4, v3, vcc_lo
	v_max_i32_e32 v12, v11, v12
	v_xor_b32_e32 v10, s97, v10
	v_cmp_le_u32_e32 vcc_lo, s88, v13
	v_ashrrev_i32_e32 v3, 31, v2
	s_delay_alu instid0(VALU_DEP_4) | instskip(NEXT) | instid1(VALU_DEP_4)
	v_mul_hi_u32 v9, v12, s98
	v_xor_b32_e32 v4, v4, v10
	s_wait_alu 0xfffd
	v_cndmask_b32_e32 v5, v5, v14, vcc_lo
	v_lshlrev_b64_e32 v[2:3], 1, v[2:3]
	v_add_nc_u32_e32 v14, -1, v15
	v_sub_nc_u32_e32 v4, v4, v10
	s_delay_alu instid0(VALU_DEP_4) | instskip(SKIP_2) | instid1(VALU_DEP_4)
	v_xor_b32_e32 v5, v5, v8
	v_mul_lo_u32 v13, v9, s88
	v_add_co_u32 v2, vcc_lo, s74, v2
	v_mul_lo_u32 v10, v4, s54
	s_delay_alu instid0(VALU_DEP_4)
	v_sub_nc_u32_e32 v5, v5, v8
	v_sub_nc_u32_e32 v8, 1, v15
	s_wait_alu 0xfffd
	v_add_co_ci_u32_e64 v3, null, s75, v3, vcc_lo
	v_sub_nc_u32_e32 v12, v12, v13
	v_add_nc_u32_e32 v13, 1, v9
	v_max_i32_e32 v8, v14, v8
	v_cmp_eq_u32_e64 s0, v10, v6
	v_mul_lo_u32 v10, v5, s54
	v_cmp_le_u32_e32 vcc_lo, s88, v12
	v_subrev_nc_u32_e32 v6, s88, v12
	v_cmp_gt_i32_e64 s42, s51, v4
	v_cmp_gt_i32_e64 s43, s51, v5
	s_wait_alu 0xfffd
	v_cndmask_b32_e32 v9, v9, v13, vcc_lo
	v_mul_hi_u32 v13, v8, s96
	v_cndmask_b32_e32 v6, v12, v6, vcc_lo
	v_sub_nc_u32_e32 v12, 0, v15
	v_cmp_eq_u32_e32 vcc_lo, v10, v7
	v_ashrrev_i32_e32 v7, 31, v11
	v_add_nc_u32_e32 v10, 1, v9
	v_cmp_le_u32_e64 s1, s88, v6
	v_max_i32_e32 v12, v15, v12
	v_mul_lo_u32 v6, v13, s87
	v_xor_b32_e32 v7, s97, v7
	s_wait_alu 0xf1ff
	v_cndmask_b32_e64 v9, v9, v10, s1
	v_mul_hi_u32 v10, v12, s96
	s_delay_alu instid0(VALU_DEP_2) | instskip(SKIP_1) | instid1(VALU_DEP_2)
	v_xor_b32_e32 v9, v9, v7
	v_sub_nc_u32_e32 v8, v8, v6
	v_sub_nc_u32_e32 v6, v9, v7
	s_delay_alu instid0(VALU_DEP_4) | instskip(NEXT) | instid1(VALU_DEP_3)
	v_mul_lo_u32 v7, v10, s87
	v_subrev_nc_u32_e32 v9, s87, v8
	v_cmp_le_u32_e64 s1, s87, v8
	s_delay_alu instid0(VALU_DEP_4) | instskip(SKIP_1) | instid1(VALU_DEP_2)
	v_cmp_gt_i32_e64 s44, s51, v6
	s_wait_alu 0xf1ff
	v_cndmask_b32_e64 v8, v8, v9, s1
	v_mul_lo_u32 v9, v6, s54
	v_sub_nc_u32_e32 v7, v12, v7
	v_add_nc_u32_e32 v12, 1, v13
	s_delay_alu instid0(VALU_DEP_4) | instskip(SKIP_1) | instid1(VALU_DEP_4)
	v_cmp_le_u32_e64 s3, s87, v8
	v_ashrrev_i32_e32 v8, 31, v14
	v_cmp_le_u32_e64 s2, s87, v7
	s_delay_alu instid0(VALU_DEP_4)
	v_cndmask_b32_e64 v12, v13, v12, s1
	v_cmp_eq_u32_e64 s1, v9, v11
	v_subrev_nc_u32_e32 v9, s87, v7
	v_add_nc_u32_e32 v11, 1, v10
	v_xor_b32_e32 v8, s95, v8
	v_add_nc_u32_e32 v13, 1, v12
	s_wait_alu 0xf1ff
	v_cndmask_b32_e64 v7, v7, v9, s2
	v_cndmask_b32_e64 v9, v10, v11, s2
	v_add_nc_u32_e32 v10, -2, v15
	v_sub_nc_u32_e32 v11, 2, v15
	v_cndmask_b32_e64 v12, v12, v13, s3
	v_cmp_le_u32_e64 s2, s87, v7
	v_add_nc_u32_e32 v13, 1, v9
	v_ashrrev_i32_e32 v7, 31, v15
	v_max_i32_e32 v11, v10, v11
	v_xor_b32_e32 v12, v12, v8
	s_wait_alu 0xf1ff
	v_cndmask_b32_e64 v9, v9, v13, s2
	v_xor_b32_e32 v16, s95, v7
	v_mul_hi_u32 v13, v11, s96
	v_sub_nc_u32_e32 v7, v12, v8
	s_delay_alu instid0(VALU_DEP_3) | instskip(NEXT) | instid1(VALU_DEP_2)
	v_xor_b32_e32 v8, v9, v16
	v_mul_lo_u32 v12, v7, s53
	v_cmp_gt_i32_e64 s35, s50, v7
	v_mul_lo_u32 v9, v13, s87
	s_delay_alu instid0(VALU_DEP_4) | instskip(SKIP_4) | instid1(VALU_DEP_4)
	v_sub_nc_u32_e32 v8, v8, v16
	s_and_b32 s84, s42, s35
	s_and_b32 s89, s43, s35
	v_cmp_eq_u32_e64 s20, v12, v14
	v_add_nc_u32_e32 v14, s55, v62
	v_sub_nc_u32_e32 v9, v11, v9
	v_mul_lo_u32 v11, v8, s53
	v_cmp_gt_i32_e64 s34, s50, v8
	s_and_b32 s90, s44, s35
	v_subrev_nc_u32_e32 v12, s87, v9
	v_cmp_le_u32_e64 s2, s87, v9
	s_and_b32 s79, s42, s34
	s_and_b32 s80, s43, s34
	v_cmp_eq_u32_e64 s21, v11, v15
	v_add_nc_u32_e32 v11, 1, v13
	s_wait_alu 0xf1ff
	v_cndmask_b32_e64 v9, v9, v12, s2
	v_add_nc_u32_e32 v12, -1, v14
	v_sub_nc_u32_e32 v15, 1, v14
	s_and_b32 s82, s44, s34
	v_cndmask_b32_e64 v11, v13, v11, s2
	v_cmp_le_u32_e64 s2, s87, v9
	s_delay_alu instid0(VALU_DEP_3) | instskip(NEXT) | instid1(VALU_DEP_3)
	v_max_i32_e32 v13, v12, v15
	v_add_nc_u32_e32 v15, 1, v11
	s_delay_alu instid0(VALU_DEP_2) | instskip(SKIP_1) | instid1(VALU_DEP_2)
	v_mul_hi_u32 v16, v13, s94
	s_wait_alu 0xf1ff
	v_cndmask_b32_e64 v9, v11, v15, s2
	s_delay_alu instid0(VALU_DEP_2) | instskip(NEXT) | instid1(VALU_DEP_1)
	v_mul_lo_u32 v11, v16, s86
	v_sub_nc_u32_e32 v11, v13, v11
	v_ashrrev_i32_e32 v13, 31, v10
	s_delay_alu instid0(VALU_DEP_2) | instskip(NEXT) | instid1(VALU_DEP_2)
	v_cmp_le_u32_e64 s2, s86, v11
	v_xor_b32_e32 v13, s95, v13
	s_delay_alu instid0(VALU_DEP_1) | instskip(NEXT) | instid1(VALU_DEP_1)
	v_xor_b32_e32 v9, v9, v13
	v_sub_nc_u32_e32 v9, v9, v13
	v_subrev_nc_u32_e32 v13, s86, v11
	s_delay_alu instid0(VALU_DEP_2) | instskip(SKIP_1) | instid1(VALU_DEP_2)
	v_mul_lo_u32 v15, v9, s53
	s_wait_alu 0xf1ff
	v_cndmask_b32_e64 v11, v11, v13, s2
	v_add_nc_u32_e32 v13, 1, v16
	v_cmp_gt_i32_e64 s37, s50, v9
	s_delay_alu instid0(VALU_DEP_2)
	v_cndmask_b32_e64 v13, v16, v13, s2
	v_cmp_eq_u32_e64 s26, v15, v10
	v_sub_nc_u32_e32 v15, 0, v14
	v_cmp_le_u32_e64 s2, s86, v11
	v_ashrrev_i32_e32 v11, 31, v12
	v_add_nc_u32_e32 v10, 1, v13
	s_and_b32 s91, s42, s37
	v_max_i32_e32 v15, v14, v15
	s_and_b32 s92, s43, s37
	v_xor_b32_e32 v11, s93, v11
	s_wait_alu 0xf1ff
	v_cndmask_b32_e64 v10, v13, v10, s2
	s_and_b32 s62, s44, s37
	v_mul_hi_u32 v13, v15, s94
	s_delay_alu instid0(VALU_DEP_2) | instskip(NEXT) | instid1(VALU_DEP_1)
	v_xor_b32_e32 v10, v10, v11
	v_sub_nc_u32_e32 v16, v10, v11
	s_delay_alu instid0(VALU_DEP_3) | instskip(NEXT) | instid1(VALU_DEP_2)
	v_mul_lo_u32 v10, v13, s86
	v_mul_lo_u32 v11, v16, s52
	v_cmp_gt_i32_e64 s36, s49, v16
	s_delay_alu instid0(VALU_DEP_3) | instskip(NEXT) | instid1(VALU_DEP_3)
	v_sub_nc_u32_e32 v10, v15, v10
	v_cmp_eq_u32_e64 s17, v11, v12
	s_delay_alu instid0(VALU_DEP_2)
	v_subrev_nc_u32_e32 v11, s86, v10
	v_add_nc_u32_e32 v12, 1, v13
	v_cmp_le_u32_e64 s2, s86, v10
	s_and_b32 s63, s17, s20
	v_cndmask_b32_e64 v10, v10, v11, s2
	v_cndmask_b32_e64 v11, v13, v12, s2
	v_add_nc_u32_e32 v12, -2, v14
	v_sub_nc_u32_e32 v13, 2, v14
	s_delay_alu instid0(VALU_DEP_4) | instskip(NEXT) | instid1(VALU_DEP_2)
	v_cmp_le_u32_e64 s2, s86, v10
	v_max_i32_e32 v13, v12, v13
	s_delay_alu instid0(VALU_DEP_1) | instskip(NEXT) | instid1(VALU_DEP_1)
	v_mul_hi_u32 v15, v13, s94
	v_mul_lo_u32 v17, v15, s86
	s_delay_alu instid0(VALU_DEP_1) | instskip(SKIP_2) | instid1(VALU_DEP_1)
	v_sub_nc_u32_e32 v13, v13, v17
	v_add_nc_u32_e32 v17, 1, v11
	s_wait_alu 0xf1ff
	v_cndmask_b32_e64 v10, v11, v17, s2
	s_delay_alu instid0(VALU_DEP_3) | instskip(SKIP_2) | instid1(VALU_DEP_1)
	v_subrev_nc_u32_e32 v11, s86, v13
	v_cmp_le_u32_e64 s2, s86, v13
	s_wait_alu 0xf1ff
	v_cndmask_b32_e64 v11, v13, v11, s2
	v_add_nc_u32_e32 v13, 1, v15
	s_delay_alu instid0(VALU_DEP_1) | instskip(SKIP_1) | instid1(VALU_DEP_4)
	v_cndmask_b32_e64 v13, v15, v13, s2
	v_ashrrev_i32_e32 v15, 31, v14
	v_cmp_le_u32_e64 s2, s86, v11
	v_ashrrev_i32_e32 v11, 31, v12
	s_delay_alu instid0(VALU_DEP_3) | instskip(NEXT) | instid1(VALU_DEP_2)
	v_xor_b32_e32 v15, s93, v15
	v_xor_b32_e32 v11, s93, v11
	s_delay_alu instid0(VALU_DEP_2) | instskip(NEXT) | instid1(VALU_DEP_1)
	v_xor_b32_e32 v10, v10, v15
	v_sub_nc_u32_e32 v15, v10, v15
	v_add_nc_u32_e32 v10, 1, v13
	s_delay_alu instid0(VALU_DEP_2) | instskip(SKIP_1) | instid1(VALU_DEP_2)
	v_cmp_gt_i32_e64 s33, s49, v15
	s_wait_alu 0xf1ff
	v_cndmask_b32_e64 v10, v13, v10, s2
	s_delay_alu instid0(VALU_DEP_1) | instskip(NEXT) | instid1(VALU_DEP_1)
	v_xor_b32_e32 v10, v10, v11
	v_sub_nc_u32_e32 v13, v10, v11
	v_mul_lo_u32 v10, v15, s52
	s_delay_alu instid0(VALU_DEP_2) | instskip(NEXT) | instid1(VALU_DEP_2)
	v_cmp_gt_i32_e64 s28, s49, v13
	v_cmp_eq_u32_e64 s8, v10, v14
	v_mul_lo_u32 v10, v13, s52
	s_and_b32 s48, s8, s21
	s_delay_alu instid0(VALU_DEP_1) | instskip(SKIP_1) | instid1(VALU_DEP_1)
	v_cmp_eq_u32_e64 s27, v10, v12
	v_mul_lo_u32 v10, s70, v63
	v_ashrrev_i32_e32 v11, 31, v10
	s_delay_alu instid0(VALU_DEP_1) | instskip(NEXT) | instid1(VALU_DEP_1)
	v_lshlrev_b64_e32 v[10:11], 1, v[10:11]
	v_add_co_u32 v66, s2, s66, v10
	v_or_b32_e32 v10, v4, v8
	s_wait_alu 0xf1ff
	s_delay_alu instid0(VALU_DEP_3) | instskip(NEXT) | instid1(VALU_DEP_2)
	v_add_co_ci_u32_e64 v67, null, s67, v11, s2
	v_or_b32_e32 v11, v10, v15
	s_delay_alu instid0(VALU_DEP_1) | instskip(SKIP_2) | instid1(VALU_DEP_1)
	v_cmp_lt_i32_e64 s2, -1, v11
	v_or_b32_e32 v11, v5, v8
	s_and_b32 s2, s79, s2
	v_or_b32_e32 v12, v11, v15
	s_wait_alu 0xfffe
	s_and_b32 s100, s2, s33
	s_and_b32 s2, s48, s0
	s_delay_alu instid0(VALU_DEP_1) | instskip(SKIP_2) | instid1(VALU_DEP_1)
	v_cmp_lt_i32_e64 s3, -1, v12
	v_or_b32_e32 v12, v6, v8
	s_and_b32 s3, s80, s3
	v_or_b32_e32 v14, v12, v15
	s_wait_alu 0xfffe
	s_and_b32 s101, s3, s33
	s_and_b32 s3, s48, vcc_lo
	s_delay_alu instid0(VALU_DEP_1) | instskip(SKIP_2) | instid1(VALU_DEP_1)
	v_cmp_lt_i32_e64 s4, -1, v14
	v_or_b32_e32 v14, v4, v7
	s_and_b32 s4, s82, s4
	v_or_b32_e32 v17, v14, v15
	s_wait_alu 0xfffe
	s_and_b32 s34, s4, s33
	s_and_b32 s4, s48, s1
	;; [unrolled: 1-line block ×3, first 2 shown]
	v_cmp_lt_i32_e64 s5, -1, v17
	v_or_b32_e32 v17, v5, v7
	s_and_b32 s5, s84, s5
	s_delay_alu instid0(VALU_DEP_1) | instskip(SKIP_3) | instid1(VALU_DEP_1)
	v_or_b32_e32 v18, v17, v15
	s_wait_alu 0xfffe
	s_and_b32 s102, s5, s33
	s_and_b32 s5, s48, s0
	v_cmp_lt_i32_e64 s6, -1, v18
	v_or_b32_e32 v18, v6, v7
	s_and_b32 s6, s89, s6
	s_delay_alu instid0(VALU_DEP_1) | instskip(SKIP_3) | instid1(VALU_DEP_1)
	v_or_b32_e32 v19, v18, v15
	s_wait_alu 0xfffe
	s_and_b32 s103, s6, s33
	s_and_b32 s6, s48, vcc_lo
	v_cmp_lt_i32_e64 s7, -1, v19
	v_or_b32_e32 v19, v4, v9
	s_and_b32 s7, s90, s7
	s_delay_alu instid0(VALU_DEP_1)
	v_or_b32_e32 v20, v19, v15
	s_wait_alu 0xfffe
	s_and_b32 s35, s7, s33
	s_and_b32 s7, s48, s1
	;; [unrolled: 1-line block ×3, first 2 shown]
	v_cmp_lt_i32_e64 s9, -1, v20
	v_or_b32_e32 v20, v5, v9
	s_wait_alu 0xfffe
	s_and_b32 s8, s48, s0
	s_and_b32 s9, s91, s9
	s_delay_alu instid0(VALU_DEP_1) | instskip(SKIP_2) | instid1(VALU_DEP_1)
	v_or_b32_e32 v21, v20, v15
	s_wait_alu 0xfffe
	s_and_b32 s42, s9, s33
	v_cmp_lt_i32_e64 s10, -1, v21
	v_or_b32_e32 v21, v6, v9
	s_and_b32 s9, s92, s10
	s_delay_alu instid0(VALU_DEP_1) | instskip(SKIP_3) | instid1(VALU_DEP_1)
	v_or_b32_e32 v22, v21, v15
	s_wait_alu 0xfffe
	s_and_b32 s43, s9, s33
	s_and_b32 s9, s48, vcc_lo
	v_cmp_lt_i32_e64 s30, -1, v22
	v_or_b32_e32 v22, v10, v16
	v_or_b32_e32 v10, v10, v13
	s_and_b32 s10, s62, s30
	s_delay_alu instid0(VALU_DEP_2) | instskip(SKIP_1) | instid1(VALU_DEP_3)
	v_cmp_lt_i32_e64 s13, -1, v22
	v_or_b32_e32 v22, v11, v16
	v_cmp_lt_i32_e64 s22, -1, v10
	v_or_b32_e32 v10, v11, v13
	v_or_b32_e32 v11, v18, v13
	s_and_b32 s13, s79, s13
	v_cmp_lt_i32_e64 s11, -1, v22
	v_or_b32_e32 v22, v12, v16
	v_cmp_lt_i32_e64 s23, -1, v10
	v_or_b32_e32 v10, v12, v13
	v_or_b32_e32 v12, v19, v13
	v_cmp_lt_i32_e64 s38, -1, v11
	v_cmp_lt_i32_e64 s12, -1, v22
	v_or_b32_e32 v22, v14, v16
	v_cmp_lt_i32_e64 s25, -1, v10
	v_or_b32_e32 v10, v14, v13
	v_or_b32_e32 v14, v20, v13
	s_and_b32 s22, s79, s22
	v_cmp_lt_i32_e64 s16, -1, v22
	v_or_b32_e32 v22, v17, v16
	v_cmp_lt_i32_e64 s29, -1, v10
	v_or_b32_e32 v10, v17, v13
	s_wait_alu 0xfffe
	s_and_b32 s30, s10, s33
	s_and_b32 s16, s84, s16
	v_cmp_lt_i32_e64 s14, -1, v22
	v_or_b32_e32 v22, v18, v16
	v_cmp_lt_i32_e64 s31, -1, v10
	v_mul_lo_u32 v10, v15, s50
	v_mul_lo_u32 v15, v16, s50
	s_and_b32 s33, s13, s36
	v_cmp_lt_i32_e64 s15, -1, v22
	v_or_b32_e32 v22, v19, v16
	s_and_b32 s13, s80, s11
	s_wait_alu 0xfffe
	s_and_b32 s104, s16, s36
	s_and_b32 s16, s89, s14
	v_add_nc_u32_e32 v17, v8, v10
	v_cmp_lt_i32_e64 s24, -1, v22
	v_or_b32_e32 v22, v20, v16
	v_add_nc_u32_e32 v18, v7, v10
	v_add_nc_u32_e32 v19, v9, v10
	v_add_nc_u32_e32 v23, v8, v15
	v_add_nc_u32_e32 v29, v7, v15
	v_cmp_lt_i32_e64 s19, -1, v22
	v_or_b32_e32 v22, v21, v16
	v_or_b32_e32 v16, v21, v13
	v_mul_lo_u32 v13, v13, s50
	v_add_nc_u32_e32 v35, v9, v15
	v_mul_lo_u32 v11, v17, s51
	v_mul_lo_u32 v17, v18, s51
	;; [unrolled: 1-line block ×6, first 2 shown]
	v_add_nc_u32_e32 v41, v8, v13
	v_add_nc_u32_e32 v47, v7, v13
	v_add_nc_u32_e32 v53, v9, v13
	v_add_nc_u32_e32 v7, v4, v11
	v_add_nc_u32_e32 v9, v5, v11
	v_mul_lo_u32 v48, v41, s51
	v_mul_lo_u32 v54, v47, s51
	;; [unrolled: 1-line block ×3, first 2 shown]
	v_add_nc_u32_e32 v11, v6, v11
	v_add_nc_u32_e32 v13, v4, v17
	;; [unrolled: 1-line block ×13, first 2 shown]
	s_and_b32 s24, s91, s24
	v_add_nc_u32_e32 v37, v4, v42
	v_add_nc_u32_e32 v39, v5, v42
	;; [unrolled: 1-line block ×11, first 2 shown]
	v_cmp_lt_i32_e64 s18, -1, v22
	s_wait_alu 0xfffe
	s_and_b32 s78, s24, s36
	s_and_b32 s24, s27, s21
	;; [unrolled: 1-line block ×5, first 2 shown]
	v_add_nc_u32_e32 v68, v6, v58
	s_and_b32 s10, s48, s1
	s_and_b32 s48, s17, s21
	;; [unrolled: 1-line block ×4, first 2 shown]
	s_and_b32 vcc_hi, s16, s36
	s_and_b32 s16, s90, s15
	s_and_b32 s19, s92, s19
	s_wait_alu 0xfffe
	s_and_b32 s21, s24, s0
	s_and_b32 s80, s22, s28
	s_and_b32 s22, s24, vcc_lo
	s_and_b32 s82, s23, s28
	s_and_b32 s23, s24, s1
	;; [unrolled: 1-line block ×3, first 2 shown]
	v_cmp_lt_i32_e64 s39, -1, v12
	v_cmp_lt_i32_e64 s40, -1, v14
	;; [unrolled: 1-line block ×3, first 2 shown]
	v_ashrrev_i32_e32 v8, 31, v7
	v_ashrrev_i32_e32 v10, 31, v9
	;; [unrolled: 1-line block ×26, first 2 shown]
	s_and_b32 s11, s48, s0
	s_and_b32 s12, s48, vcc_lo
	s_and_b32 s44, s13, s36
	s_and_b32 s13, s48, s1
	s_and_b32 s14, s63, s0
	s_and_b32 s15, s63, vcc_lo
	s_and_b32 s48, s16, s36
	s_and_b32 s16, s63, s1
	;; [unrolled: 1-line block ×6, first 2 shown]
	s_wait_alu 0xfffe
	s_and_b32 s29, s24, s28
	s_and_b32 s24, s89, s31
	;; [unrolled: 1-line block ×3, first 2 shown]
	v_ashrrev_i32_e32 v69, 31, v68
	s_and_b32 s17, s63, s0
	s_and_b32 s18, s63, vcc_lo
	s_and_b32 s36, s19, s36
	s_and_b32 s19, s63, s1
	s_and_b32 s20, s25, s0
	s_wait_alu 0xfffe
	s_and_b32 s31, s24, s28
	s_and_b32 s24, s25, vcc_lo
	s_and_b32 s25, s25, s1
	s_and_b32 s0, s26, s0
	s_and_b32 vcc_lo, s26, vcc_lo
	s_and_b32 s1, s26, s1
	s_mul_i32 s26, s71, s64
	v_lshlrev_b64_e32 v[4:5], 1, v[7:8]
	v_lshlrev_b64_e32 v[6:7], 1, v[9:10]
	v_lshlrev_b64_e32 v[8:9], 1, v[11:12]
	v_lshlrev_b64_e32 v[10:11], 1, v[13:14]
	v_lshlrev_b64_e32 v[12:13], 1, v[15:16]
	v_lshlrev_b64_e32 v[14:15], 1, v[17:18]
	v_lshlrev_b64_e32 v[16:17], 1, v[19:20]
	v_lshlrev_b64_e32 v[18:19], 1, v[21:22]
	v_lshlrev_b64_e32 v[20:21], 1, v[23:24]
	v_lshlrev_b64_e32 v[22:23], 1, v[25:26]
	v_lshlrev_b64_e32 v[24:25], 1, v[27:28]
	v_lshlrev_b64_e32 v[26:27], 1, v[29:30]
	v_lshlrev_b64_e32 v[28:29], 1, v[31:32]
	v_lshlrev_b64_e32 v[30:31], 1, v[33:34]
	v_lshlrev_b64_e32 v[32:33], 1, v[35:36]
	v_lshlrev_b64_e32 v[34:35], 1, v[37:38]
	v_lshlrev_b64_e32 v[36:37], 1, v[39:40]
	v_lshlrev_b64_e32 v[38:39], 1, v[41:42]
	v_lshlrev_b64_e32 v[40:41], 1, v[43:44]
	v_lshlrev_b64_e32 v[42:43], 1, v[45:46]
	v_lshlrev_b64_e32 v[44:45], 1, v[47:48]
	v_lshlrev_b64_e32 v[46:47], 1, v[49:50]
	v_lshlrev_b64_e32 v[48:49], 1, v[51:52]
	v_lshlrev_b64_e32 v[50:51], 1, v[53:54]
	v_lshlrev_b64_e32 v[52:53], 1, v[55:56]
	v_lshlrev_b64_e32 v[54:55], 1, v[57:58]
	s_wait_alu 0xfffe
	v_mul_lo_u32 v58, s26, v64
	s_and_b32 s27, s92, s40
	v_lshlrev_b64_e32 v[56:57], 1, v[68:69]
	v_dual_mov_b32 v69, 0 :: v_dual_add_nc_u32 v68, s64, v65
	s_and_b32 s38, s90, s38
	s_and_b32 s39, s91, s39
	s_wait_alu 0xfffe
	s_and_b32 s40, s27, s28
	s_and_b32 s27, s62, s41
	;; [unrolled: 1-line block ×4, first 2 shown]
	s_wait_alu 0xfffe
	s_and_b32 s28, s27, s28
	s_branch .LBB23_7
.LBB23_6:                               ;   in Loop: Header=BB23_7 Depth=2
	s_wait_alu 0xfffe
	s_or_b32 exec_lo, exec_lo, s27
	s_wait_loadcnt 0x1a
	v_fma_mix_f32 v59, v59, v70, v69 op_sel_hi:[0,1,0]
	v_add_nc_u32_e32 v65, 1, v65
	v_add_co_u32 v2, s27, v2, 54
	s_wait_alu 0xf1ff
	v_add_co_ci_u32_e64 v3, null, 0, v3, s27
	v_cndmask_b32_e64 v59, v69, v59, s2
	v_cmp_ge_i32_e64 s26, v65, v68
	v_add_nc_u32_e32 v58, s71, v58
	s_wait_loadcnt 0x19
	s_delay_alu instid0(VALU_DEP_3) | instskip(SKIP_1) | instid1(VALU_DEP_1)
	v_fma_mix_f32 v69, v75, v73, v59 op_sel_hi:[0,1,0]
	s_or_b32 s99, s26, s99
	v_cndmask_b32_e64 v59, v59, v69, s3
	s_wait_loadcnt 0x18
	s_delay_alu instid0(VALU_DEP_1) | instskip(NEXT) | instid1(VALU_DEP_1)
	v_fma_mix_f32 v69, v74, v76, v59 op_sel_hi:[0,1,0]
	v_cndmask_b32_e64 v59, v59, v69, s4
	s_wait_loadcnt 0x17
	s_delay_alu instid0(VALU_DEP_1) | instskip(NEXT) | instid1(VALU_DEP_1)
	v_fma_mix_f32 v69, v79, v77, v59 op_sel_hi:[0,1,0]
	;; [unrolled: 4-line block ×24, first 2 shown]
	v_cndmask_b32_e32 v59, v59, v69, vcc_lo
	s_wait_loadcnt 0x0
	s_delay_alu instid0(VALU_DEP_1) | instskip(NEXT) | instid1(VALU_DEP_1)
	v_fma_mix_f32 v69, v121, v123, v59 op_sel_hi:[0,1,0]
	v_cndmask_b32_e64 v69, v59, v69, s1
	s_wait_alu 0xfffe
	s_and_not1_b32 exec_lo, exec_lo, s99
	s_cbranch_execz .LBB23_2
.LBB23_7:                               ;   Parent Loop BB23_4 Depth=1
                                        ; =>  This Inner Loop Header: Depth=2
	global_load_u16 v70, v[2:3], off
	v_ashrrev_i32_e32 v59, 31, v58
	s_delay_alu instid0(VALU_DEP_1) | instskip(SKIP_1) | instid1(VALU_DEP_2)
	v_lshlrev_b64_e32 v[71:72], 1, v[58:59]
	v_mov_b32_e32 v59, 0
	v_add_co_u32 v71, s26, v66, v71
	s_wait_alu 0xf1ff
	s_delay_alu instid0(VALU_DEP_3)
	v_add_co_ci_u32_e64 v72, null, v67, v72, s26
	s_and_saveexec_b32 s27, s100
	s_cbranch_execz .LBB23_9
; %bb.8:                                ;   in Loop: Header=BB23_7 Depth=2
	v_add_co_u32 v73, s26, v71, v4
	s_wait_alu 0xf1ff
	v_add_co_ci_u32_e64 v74, null, v72, v5, s26
	global_load_u16 v59, v[73:74], off
	s_wait_loadcnt 0x0
	v_cvt_f32_f16_e32 v59, v59
.LBB23_9:                               ;   in Loop: Header=BB23_7 Depth=2
	s_wait_alu 0xfffe
	s_or_b32 exec_lo, exec_lo, s27
	global_load_u16 v73, v[2:3], off offset:2
	v_dual_mov_b32 v74, 0 :: v_dual_mov_b32 v75, 0
	s_and_saveexec_b32 s27, s101
	s_cbranch_execz .LBB23_11
; %bb.10:                               ;   in Loop: Header=BB23_7 Depth=2
	v_add_co_u32 v75, s26, v71, v6
	s_wait_alu 0xf1ff
	v_add_co_ci_u32_e64 v76, null, v72, v7, s26
	global_load_u16 v75, v[75:76], off
	s_wait_loadcnt 0x0
	v_cvt_f32_f16_e32 v75, v75
.LBB23_11:                              ;   in Loop: Header=BB23_7 Depth=2
	s_wait_alu 0xfffe
	s_or_b32 exec_lo, exec_lo, s27
	global_load_u16 v76, v[2:3], off offset:4
	s_and_saveexec_b32 s27, s34
	s_cbranch_execz .LBB23_13
; %bb.12:                               ;   in Loop: Header=BB23_7 Depth=2
	v_add_co_u32 v77, s26, v71, v8
	s_wait_alu 0xf1ff
	v_add_co_ci_u32_e64 v78, null, v72, v9, s26
	global_load_u16 v74, v[77:78], off
	s_wait_loadcnt 0x0
	v_cvt_f32_f16_e32 v74, v74
.LBB23_13:                              ;   in Loop: Header=BB23_7 Depth=2
	s_wait_alu 0xfffe
	s_or_b32 exec_lo, exec_lo, s27
	global_load_u16 v77, v[2:3], off offset:6
	v_dual_mov_b32 v78, 0 :: v_dual_mov_b32 v79, 0
	s_and_saveexec_b32 s27, s102
	s_cbranch_execz .LBB23_15
; %bb.14:                               ;   in Loop: Header=BB23_7 Depth=2
	v_add_co_u32 v79, s26, v71, v10
	s_wait_alu 0xf1ff
	v_add_co_ci_u32_e64 v80, null, v72, v11, s26
	global_load_u16 v79, v[79:80], off
	s_wait_loadcnt 0x0
	v_cvt_f32_f16_e32 v79, v79
.LBB23_15:                              ;   in Loop: Header=BB23_7 Depth=2
	s_wait_alu 0xfffe
	s_or_b32 exec_lo, exec_lo, s27
	global_load_u16 v80, v[2:3], off offset:8
	s_and_saveexec_b32 s27, s103
	s_cbranch_execz .LBB23_17
; %bb.16:                               ;   in Loop: Header=BB23_7 Depth=2
	v_add_co_u32 v81, s26, v71, v12
	s_wait_alu 0xf1ff
	v_add_co_ci_u32_e64 v82, null, v72, v13, s26
	global_load_u16 v78, v[81:82], off
	s_wait_loadcnt 0x0
	v_cvt_f32_f16_e32 v78, v78
.LBB23_17:                              ;   in Loop: Header=BB23_7 Depth=2
	;; [unrolled: 27-line block ×6, first 2 shown]
	s_wait_alu 0xfffe
	s_or_b32 exec_lo, exec_lo, s27
	global_load_u16 v97, v[2:3], off offset:26
	v_dual_mov_b32 v98, 0 :: v_dual_mov_b32 v99, 0
	s_and_saveexec_b32 s27, vcc_hi
	s_cbranch_execz .LBB23_35
; %bb.34:                               ;   in Loop: Header=BB23_7 Depth=2
	v_add_co_u32 v99, s26, v71, v30
	s_wait_alu 0xf1ff
	v_add_co_ci_u32_e64 v100, null, v72, v31, s26
	global_load_u16 v99, v[99:100], off
	s_wait_loadcnt 0x0
	v_cvt_f32_f16_e32 v99, v99
.LBB23_35:                              ;   in Loop: Header=BB23_7 Depth=2
	s_wait_alu 0xfffe
	s_or_b32 exec_lo, exec_lo, s27
	global_load_u16 v100, v[2:3], off offset:28
	s_and_saveexec_b32 s27, s48
	s_cbranch_execz .LBB23_37
; %bb.36:                               ;   in Loop: Header=BB23_7 Depth=2
	v_add_co_u32 v101, s26, v71, v32
	s_wait_alu 0xf1ff
	v_add_co_ci_u32_e64 v102, null, v72, v33, s26
	global_load_u16 v98, v[101:102], off
	s_wait_loadcnt 0x0
	v_cvt_f32_f16_e32 v98, v98
.LBB23_37:                              ;   in Loop: Header=BB23_7 Depth=2
	s_wait_alu 0xfffe
	s_or_b32 exec_lo, exec_lo, s27
	global_load_u16 v101, v[2:3], off offset:30
	v_dual_mov_b32 v102, 0 :: v_dual_mov_b32 v103, 0
	s_and_saveexec_b32 s27, s78
	s_cbranch_execz .LBB23_39
; %bb.38:                               ;   in Loop: Header=BB23_7 Depth=2
	v_add_co_u32 v103, s26, v71, v34
	s_wait_alu 0xf1ff
	v_add_co_ci_u32_e64 v104, null, v72, v35, s26
	global_load_u16 v103, v[103:104], off
	s_wait_loadcnt 0x0
	v_cvt_f32_f16_e32 v103, v103
.LBB23_39:                              ;   in Loop: Header=BB23_7 Depth=2
	s_wait_alu 0xfffe
	s_or_b32 exec_lo, exec_lo, s27
	global_load_u16 v104, v[2:3], off offset:32
	s_and_saveexec_b32 s27, s77
	s_cbranch_execz .LBB23_41
; %bb.40:                               ;   in Loop: Header=BB23_7 Depth=2
	v_add_co_u32 v105, s26, v71, v36
	s_wait_alu 0xf1ff
	v_add_co_ci_u32_e64 v106, null, v72, v37, s26
	global_load_u16 v102, v[105:106], off
	s_wait_loadcnt 0x0
	v_cvt_f32_f16_e32 v102, v102
.LBB23_41:                              ;   in Loop: Header=BB23_7 Depth=2
	s_wait_alu 0xfffe
	s_or_b32 exec_lo, exec_lo, s27
	global_load_u16 v105, v[2:3], off offset:34
	v_dual_mov_b32 v106, 0 :: v_dual_mov_b32 v107, 0
	s_and_saveexec_b32 s27, s36
	;; [unrolled: 27-line block ×6, first 2 shown]
	s_cbranch_execz .LBB23_59
; %bb.58:                               ;   in Loop: Header=BB23_7 Depth=2
	v_add_co_u32 v123, s26, v71, v54
	s_wait_alu 0xf1ff
	v_add_co_ci_u32_e64 v124, null, v72, v55, s26
	global_load_u16 v123, v[123:124], off
	s_wait_loadcnt 0x0
	v_cvt_f32_f16_e32 v124, v123
.LBB23_59:                              ;   in Loop: Header=BB23_7 Depth=2
	s_wait_alu 0xfffe
	s_or_b32 exec_lo, exec_lo, s27
	global_load_u16 v123, v[2:3], off offset:52
	s_and_saveexec_b32 s27, s28
	s_cbranch_execz .LBB23_6
; %bb.60:                               ;   in Loop: Header=BB23_7 Depth=2
	v_add_co_u32 v71, s26, v71, v56
	s_wait_alu 0xf1ff
	v_add_co_ci_u32_e64 v72, null, v72, v57, s26
	global_load_u16 v71, v[71:72], off
	s_wait_loadcnt 0x0
	v_cvt_f32_f16_e32 v121, v71
	s_branch .LBB23_6
.LBB23_61:                              ;   in Loop: Header=BB23_4 Depth=1
	v_mov_b32_e32 v2, 0
	s_branch .LBB23_3
.LBB23_62:
	s_nop 0
	s_sendmsg sendmsg(MSG_DEALLOC_VGPRS)
	s_endpgm
	.section	.rodata,"a",@progbits
	.p2align	6, 0x0
	.amdhsa_kernel _ZN2at6native12_GLOBAL__N_143conv_depthwise3d_cuda_backward_input_kernelIN3c104HalfEfLi3ELi3ELi3ELi1ELi1ELi1ELin1ELin1ELin1EEEvN5torch10headeronly6detail27GenericPackedTensorAccessorINS7_14TensorAccessorINS3_8ArrayRefIlEEKT_Lm4ENS6_16DefaultPtrTraitsEiEENS_6detail16IndexBoundsCheckILm5EiEESD_Lm5ESE_iEENS8_INS9_ISB_SC_Lm4ESE_iEESI_SC_Lm5ESE_iEESJ_iiiiiiiii
		.amdhsa_group_segment_fixed_size 0
		.amdhsa_private_segment_fixed_size 0
		.amdhsa_kernarg_size 440
		.amdhsa_user_sgpr_count 2
		.amdhsa_user_sgpr_dispatch_ptr 0
		.amdhsa_user_sgpr_queue_ptr 0
		.amdhsa_user_sgpr_kernarg_segment_ptr 1
		.amdhsa_user_sgpr_dispatch_id 0
		.amdhsa_user_sgpr_private_segment_size 0
		.amdhsa_wavefront_size32 1
		.amdhsa_uses_dynamic_stack 0
		.amdhsa_enable_private_segment 0
		.amdhsa_system_sgpr_workgroup_id_x 1
		.amdhsa_system_sgpr_workgroup_id_y 0
		.amdhsa_system_sgpr_workgroup_id_z 0
		.amdhsa_system_sgpr_workgroup_info 0
		.amdhsa_system_vgpr_workitem_id 0
		.amdhsa_next_free_vgpr 126
		.amdhsa_next_free_sgpr 105
		.amdhsa_reserve_vcc 1
		.amdhsa_float_round_mode_32 0
		.amdhsa_float_round_mode_16_64 0
		.amdhsa_float_denorm_mode_32 3
		.amdhsa_float_denorm_mode_16_64 3
		.amdhsa_fp16_overflow 0
		.amdhsa_workgroup_processor_mode 1
		.amdhsa_memory_ordered 1
		.amdhsa_forward_progress 1
		.amdhsa_inst_pref_size 57
		.amdhsa_round_robin_scheduling 0
		.amdhsa_exception_fp_ieee_invalid_op 0
		.amdhsa_exception_fp_denorm_src 0
		.amdhsa_exception_fp_ieee_div_zero 0
		.amdhsa_exception_fp_ieee_overflow 0
		.amdhsa_exception_fp_ieee_underflow 0
		.amdhsa_exception_fp_ieee_inexact 0
		.amdhsa_exception_int_div_zero 0
	.end_amdhsa_kernel
	.section	.text._ZN2at6native12_GLOBAL__N_143conv_depthwise3d_cuda_backward_input_kernelIN3c104HalfEfLi3ELi3ELi3ELi1ELi1ELi1ELin1ELin1ELin1EEEvN5torch10headeronly6detail27GenericPackedTensorAccessorINS7_14TensorAccessorINS3_8ArrayRefIlEEKT_Lm4ENS6_16DefaultPtrTraitsEiEENS_6detail16IndexBoundsCheckILm5EiEESD_Lm5ESE_iEENS8_INS9_ISB_SC_Lm4ESE_iEESI_SC_Lm5ESE_iEESJ_iiiiiiiii,"axG",@progbits,_ZN2at6native12_GLOBAL__N_143conv_depthwise3d_cuda_backward_input_kernelIN3c104HalfEfLi3ELi3ELi3ELi1ELi1ELi1ELin1ELin1ELin1EEEvN5torch10headeronly6detail27GenericPackedTensorAccessorINS7_14TensorAccessorINS3_8ArrayRefIlEEKT_Lm4ENS6_16DefaultPtrTraitsEiEENS_6detail16IndexBoundsCheckILm5EiEESD_Lm5ESE_iEENS8_INS9_ISB_SC_Lm4ESE_iEESI_SC_Lm5ESE_iEESJ_iiiiiiiii,comdat
.Lfunc_end23:
	.size	_ZN2at6native12_GLOBAL__N_143conv_depthwise3d_cuda_backward_input_kernelIN3c104HalfEfLi3ELi3ELi3ELi1ELi1ELi1ELin1ELin1ELin1EEEvN5torch10headeronly6detail27GenericPackedTensorAccessorINS7_14TensorAccessorINS3_8ArrayRefIlEEKT_Lm4ENS6_16DefaultPtrTraitsEiEENS_6detail16IndexBoundsCheckILm5EiEESD_Lm5ESE_iEENS8_INS9_ISB_SC_Lm4ESE_iEESI_SC_Lm5ESE_iEESJ_iiiiiiiii, .Lfunc_end23-_ZN2at6native12_GLOBAL__N_143conv_depthwise3d_cuda_backward_input_kernelIN3c104HalfEfLi3ELi3ELi3ELi1ELi1ELi1ELin1ELin1ELin1EEEvN5torch10headeronly6detail27GenericPackedTensorAccessorINS7_14TensorAccessorINS3_8ArrayRefIlEEKT_Lm4ENS6_16DefaultPtrTraitsEiEENS_6detail16IndexBoundsCheckILm5EiEESD_Lm5ESE_iEENS8_INS9_ISB_SC_Lm4ESE_iEESI_SC_Lm5ESE_iEESJ_iiiiiiiii
                                        ; -- End function
	.set _ZN2at6native12_GLOBAL__N_143conv_depthwise3d_cuda_backward_input_kernelIN3c104HalfEfLi3ELi3ELi3ELi1ELi1ELi1ELin1ELin1ELin1EEEvN5torch10headeronly6detail27GenericPackedTensorAccessorINS7_14TensorAccessorINS3_8ArrayRefIlEEKT_Lm4ENS6_16DefaultPtrTraitsEiEENS_6detail16IndexBoundsCheckILm5EiEESD_Lm5ESE_iEENS8_INS9_ISB_SC_Lm4ESE_iEESI_SC_Lm5ESE_iEESJ_iiiiiiiii.num_vgpr, 126
	.set _ZN2at6native12_GLOBAL__N_143conv_depthwise3d_cuda_backward_input_kernelIN3c104HalfEfLi3ELi3ELi3ELi1ELi1ELi1ELin1ELin1ELin1EEEvN5torch10headeronly6detail27GenericPackedTensorAccessorINS7_14TensorAccessorINS3_8ArrayRefIlEEKT_Lm4ENS6_16DefaultPtrTraitsEiEENS_6detail16IndexBoundsCheckILm5EiEESD_Lm5ESE_iEENS8_INS9_ISB_SC_Lm4ESE_iEESI_SC_Lm5ESE_iEESJ_iiiiiiiii.num_agpr, 0
	.set _ZN2at6native12_GLOBAL__N_143conv_depthwise3d_cuda_backward_input_kernelIN3c104HalfEfLi3ELi3ELi3ELi1ELi1ELi1ELin1ELin1ELin1EEEvN5torch10headeronly6detail27GenericPackedTensorAccessorINS7_14TensorAccessorINS3_8ArrayRefIlEEKT_Lm4ENS6_16DefaultPtrTraitsEiEENS_6detail16IndexBoundsCheckILm5EiEESD_Lm5ESE_iEENS8_INS9_ISB_SC_Lm4ESE_iEESI_SC_Lm5ESE_iEESJ_iiiiiiiii.numbered_sgpr, 105
	.set _ZN2at6native12_GLOBAL__N_143conv_depthwise3d_cuda_backward_input_kernelIN3c104HalfEfLi3ELi3ELi3ELi1ELi1ELi1ELin1ELin1ELin1EEEvN5torch10headeronly6detail27GenericPackedTensorAccessorINS7_14TensorAccessorINS3_8ArrayRefIlEEKT_Lm4ENS6_16DefaultPtrTraitsEiEENS_6detail16IndexBoundsCheckILm5EiEESD_Lm5ESE_iEENS8_INS9_ISB_SC_Lm4ESE_iEESI_SC_Lm5ESE_iEESJ_iiiiiiiii.num_named_barrier, 0
	.set _ZN2at6native12_GLOBAL__N_143conv_depthwise3d_cuda_backward_input_kernelIN3c104HalfEfLi3ELi3ELi3ELi1ELi1ELi1ELin1ELin1ELin1EEEvN5torch10headeronly6detail27GenericPackedTensorAccessorINS7_14TensorAccessorINS3_8ArrayRefIlEEKT_Lm4ENS6_16DefaultPtrTraitsEiEENS_6detail16IndexBoundsCheckILm5EiEESD_Lm5ESE_iEENS8_INS9_ISB_SC_Lm4ESE_iEESI_SC_Lm5ESE_iEESJ_iiiiiiiii.private_seg_size, 0
	.set _ZN2at6native12_GLOBAL__N_143conv_depthwise3d_cuda_backward_input_kernelIN3c104HalfEfLi3ELi3ELi3ELi1ELi1ELi1ELin1ELin1ELin1EEEvN5torch10headeronly6detail27GenericPackedTensorAccessorINS7_14TensorAccessorINS3_8ArrayRefIlEEKT_Lm4ENS6_16DefaultPtrTraitsEiEENS_6detail16IndexBoundsCheckILm5EiEESD_Lm5ESE_iEENS8_INS9_ISB_SC_Lm4ESE_iEESI_SC_Lm5ESE_iEESJ_iiiiiiiii.uses_vcc, 1
	.set _ZN2at6native12_GLOBAL__N_143conv_depthwise3d_cuda_backward_input_kernelIN3c104HalfEfLi3ELi3ELi3ELi1ELi1ELi1ELin1ELin1ELin1EEEvN5torch10headeronly6detail27GenericPackedTensorAccessorINS7_14TensorAccessorINS3_8ArrayRefIlEEKT_Lm4ENS6_16DefaultPtrTraitsEiEENS_6detail16IndexBoundsCheckILm5EiEESD_Lm5ESE_iEENS8_INS9_ISB_SC_Lm4ESE_iEESI_SC_Lm5ESE_iEESJ_iiiiiiiii.uses_flat_scratch, 0
	.set _ZN2at6native12_GLOBAL__N_143conv_depthwise3d_cuda_backward_input_kernelIN3c104HalfEfLi3ELi3ELi3ELi1ELi1ELi1ELin1ELin1ELin1EEEvN5torch10headeronly6detail27GenericPackedTensorAccessorINS7_14TensorAccessorINS3_8ArrayRefIlEEKT_Lm4ENS6_16DefaultPtrTraitsEiEENS_6detail16IndexBoundsCheckILm5EiEESD_Lm5ESE_iEENS8_INS9_ISB_SC_Lm4ESE_iEESI_SC_Lm5ESE_iEESJ_iiiiiiiii.has_dyn_sized_stack, 0
	.set _ZN2at6native12_GLOBAL__N_143conv_depthwise3d_cuda_backward_input_kernelIN3c104HalfEfLi3ELi3ELi3ELi1ELi1ELi1ELin1ELin1ELin1EEEvN5torch10headeronly6detail27GenericPackedTensorAccessorINS7_14TensorAccessorINS3_8ArrayRefIlEEKT_Lm4ENS6_16DefaultPtrTraitsEiEENS_6detail16IndexBoundsCheckILm5EiEESD_Lm5ESE_iEENS8_INS9_ISB_SC_Lm4ESE_iEESI_SC_Lm5ESE_iEESJ_iiiiiiiii.has_recursion, 0
	.set _ZN2at6native12_GLOBAL__N_143conv_depthwise3d_cuda_backward_input_kernelIN3c104HalfEfLi3ELi3ELi3ELi1ELi1ELi1ELin1ELin1ELin1EEEvN5torch10headeronly6detail27GenericPackedTensorAccessorINS7_14TensorAccessorINS3_8ArrayRefIlEEKT_Lm4ENS6_16DefaultPtrTraitsEiEENS_6detail16IndexBoundsCheckILm5EiEESD_Lm5ESE_iEENS8_INS9_ISB_SC_Lm4ESE_iEESI_SC_Lm5ESE_iEESJ_iiiiiiiii.has_indirect_call, 0
	.section	.AMDGPU.csdata,"",@progbits
; Kernel info:
; codeLenInByte = 7176
; TotalNumSgprs: 107
; NumVgprs: 126
; ScratchSize: 0
; MemoryBound: 0
; FloatMode: 240
; IeeeMode: 1
; LDSByteSize: 0 bytes/workgroup (compile time only)
; SGPRBlocks: 0
; VGPRBlocks: 15
; NumSGPRsForWavesPerEU: 107
; NumVGPRsForWavesPerEU: 126
; Occupancy: 10
; WaveLimiterHint : 0
; COMPUTE_PGM_RSRC2:SCRATCH_EN: 0
; COMPUTE_PGM_RSRC2:USER_SGPR: 2
; COMPUTE_PGM_RSRC2:TRAP_HANDLER: 0
; COMPUTE_PGM_RSRC2:TGID_X_EN: 1
; COMPUTE_PGM_RSRC2:TGID_Y_EN: 0
; COMPUTE_PGM_RSRC2:TGID_Z_EN: 0
; COMPUTE_PGM_RSRC2:TIDIG_COMP_CNT: 0
	.section	.text._ZN2at6native12_GLOBAL__N_143conv_depthwise3d_cuda_backward_input_kernelIN3c104HalfEfLi3ELi3ELi3ELin1ELin1ELin1ELi1ELi1ELi1EEEvN5torch10headeronly6detail27GenericPackedTensorAccessorINS7_14TensorAccessorINS3_8ArrayRefIlEEKT_Lm4ENS6_16DefaultPtrTraitsEiEENS_6detail16IndexBoundsCheckILm5EiEESD_Lm5ESE_iEENS8_INS9_ISB_SC_Lm4ESE_iEESI_SC_Lm5ESE_iEESJ_iiiiiiiii,"axG",@progbits,_ZN2at6native12_GLOBAL__N_143conv_depthwise3d_cuda_backward_input_kernelIN3c104HalfEfLi3ELi3ELi3ELin1ELin1ELin1ELi1ELi1ELi1EEEvN5torch10headeronly6detail27GenericPackedTensorAccessorINS7_14TensorAccessorINS3_8ArrayRefIlEEKT_Lm4ENS6_16DefaultPtrTraitsEiEENS_6detail16IndexBoundsCheckILm5EiEESD_Lm5ESE_iEENS8_INS9_ISB_SC_Lm4ESE_iEESI_SC_Lm5ESE_iEESJ_iiiiiiiii,comdat
	.globl	_ZN2at6native12_GLOBAL__N_143conv_depthwise3d_cuda_backward_input_kernelIN3c104HalfEfLi3ELi3ELi3ELin1ELin1ELin1ELi1ELi1ELi1EEEvN5torch10headeronly6detail27GenericPackedTensorAccessorINS7_14TensorAccessorINS3_8ArrayRefIlEEKT_Lm4ENS6_16DefaultPtrTraitsEiEENS_6detail16IndexBoundsCheckILm5EiEESD_Lm5ESE_iEENS8_INS9_ISB_SC_Lm4ESE_iEESI_SC_Lm5ESE_iEESJ_iiiiiiiii ; -- Begin function _ZN2at6native12_GLOBAL__N_143conv_depthwise3d_cuda_backward_input_kernelIN3c104HalfEfLi3ELi3ELi3ELin1ELin1ELin1ELi1ELi1ELi1EEEvN5torch10headeronly6detail27GenericPackedTensorAccessorINS7_14TensorAccessorINS3_8ArrayRefIlEEKT_Lm4ENS6_16DefaultPtrTraitsEiEENS_6detail16IndexBoundsCheckILm5EiEESD_Lm5ESE_iEENS8_INS9_ISB_SC_Lm4ESE_iEESI_SC_Lm5ESE_iEESJ_iiiiiiiii
	.p2align	8
	.type	_ZN2at6native12_GLOBAL__N_143conv_depthwise3d_cuda_backward_input_kernelIN3c104HalfEfLi3ELi3ELi3ELin1ELin1ELin1ELi1ELi1ELi1EEEvN5torch10headeronly6detail27GenericPackedTensorAccessorINS7_14TensorAccessorINS3_8ArrayRefIlEEKT_Lm4ENS6_16DefaultPtrTraitsEiEENS_6detail16IndexBoundsCheckILm5EiEESD_Lm5ESE_iEENS8_INS9_ISB_SC_Lm4ESE_iEESI_SC_Lm5ESE_iEESJ_iiiiiiiii,@function
_ZN2at6native12_GLOBAL__N_143conv_depthwise3d_cuda_backward_input_kernelIN3c104HalfEfLi3ELi3ELi3ELin1ELin1ELin1ELi1ELi1ELi1EEEvN5torch10headeronly6detail27GenericPackedTensorAccessorINS7_14TensorAccessorINS3_8ArrayRefIlEEKT_Lm4ENS6_16DefaultPtrTraitsEiEENS_6detail16IndexBoundsCheckILm5EiEESD_Lm5ESE_iEENS8_INS9_ISB_SC_Lm4ESE_iEESI_SC_Lm5ESE_iEESJ_iiiiiiiii: ; @_ZN2at6native12_GLOBAL__N_143conv_depthwise3d_cuda_backward_input_kernelIN3c104HalfEfLi3ELi3ELi3ELin1ELin1ELin1ELi1ELi1ELi1EEEvN5torch10headeronly6detail27GenericPackedTensorAccessorINS7_14TensorAccessorINS3_8ArrayRefIlEEKT_Lm4ENS6_16DefaultPtrTraitsEiEENS_6detail16IndexBoundsCheckILm5EiEESD_Lm5ESE_iEENS8_INS9_ISB_SC_Lm4ESE_iEESI_SC_Lm5ESE_iEESJ_iiiiiiiii
; %bb.0:
	s_clause 0x2
	s_load_b128 s[4:7], s[0:1], 0x38
	s_load_b32 s2, s[0:1], 0xc4
	s_load_b64 s[20:21], s[0:1], 0x48
	v_mov_b32_e32 v1, 0
	s_wait_kmcnt 0x0
	s_abs_i32 s33, s5
	s_and_b32 s2, s2, 0xffff
	s_cvt_f32_u32 s3, s33
	v_mad_co_u64_u32 v[0:1], null, s2, ttmp9, v[0:1]
	s_mul_i32 s22, s21, s4
	s_delay_alu instid0(SALU_CYCLE_1) | instskip(SKIP_2) | instid1(TRANS32_DEP_1)
	v_rcp_iflag_f32_e32 v2, s3
	s_ashr_i32 s23, s22, 31
	s_mov_b32 s4, exec_lo
	v_readfirstlane_b32 s3, v2
	v_cmpx_gt_i64_e64 s[22:23], v[0:1]
	s_cbranch_execz .LBB24_62
; %bb.1:
	s_clause 0x1
	s_load_b128 s[8:11], s[0:1], 0xc
	s_load_b64 s[26:27], s[0:1], 0x0
	s_mul_f32 s3, s3, 0x4f7ffffe
	s_sub_co_i32 s4, 0, s33
	s_mov_b32 s25, 0
	s_ashr_i32 s38, s5, 31
	s_wait_alu 0xfffe
	s_cvt_u32_f32 s3, s3
	s_mov_b32 s13, s25
	s_add_nc_u64 s[16:17], s[0:1], 0xb8
	s_load_b64 s[28:29], s[0:1], 0xac
	s_mul_i32 s12, s4, s3
	s_delay_alu instid0(SALU_CYCLE_1) | instskip(NEXT) | instid1(SALU_CYCLE_1)
	s_mul_hi_u32 s12, s3, s12
	s_add_co_i32 s12, s3, s12
	v_readfirstlane_b32 s3, v2
	s_mul_f32 s3, s3, 0x4f7ffffe
	s_wait_kmcnt 0x0
	s_abs_i32 s24, s8
	s_ashr_i32 s8, s8, 31
	s_mul_u64 s[18:19], s[24:25], s[12:13]
	s_xor_b32 s8, s8, s38
	s_mul_i32 s18, s19, s33
	s_clause 0x1
	s_load_b128 s[12:15], s[0:1], 0x9c
	s_load_b32 s39, s[0:1], 0x7c
	s_sub_co_i32 s18, s24, s18
	s_add_co_i32 s24, s19, 1
	s_sub_co_i32 s30, s18, s33
	s_cmp_ge_u32 s18, s33
	s_load_b32 s43, s[16:17], 0x0
	s_cselect_b32 s16, s24, s19
	s_cselect_b32 s17, s30, s18
	s_add_co_i32 s18, s16, 1
	s_cmp_ge_u32 s17, s33
	s_clause 0x1
	s_load_b64 s[30:31], s[0:1], 0x1c
	s_load_b64 s[34:35], s[0:1], 0x30
	s_cselect_b32 s16, s18, s16
	s_cvt_u32_f32 s3, s3
	s_xor_b32 s16, s16, s8
	s_delay_alu instid0(SALU_CYCLE_1)
	s_sub_co_i32 s8, s16, s8
	s_clause 0x1
	s_load_b64 s[36:37], s[0:1], 0x60
	s_load_b128 s[16:19], s[0:1], 0x50
	s_cmp_gt_i32 s8, 0
	s_mul_i32 s4, s4, s3
	s_cselect_b32 s24, -1, 0
	s_abs_i32 s40, s20
	s_abs_i32 s41, s7
	;; [unrolled: 1-line block ×3, first 2 shown]
	s_cvt_f32_u32 s0, s40
	s_cvt_f32_u32 s1, s41
	;; [unrolled: 1-line block ×3, first 2 shown]
	s_wait_kmcnt 0x0
	s_mul_i32 s43, s43, s2
	s_wait_alu 0xfffe
	v_rcp_iflag_f32_e32 v2, s0
	v_rcp_iflag_f32_e32 v3, s1
	;; [unrolled: 1-line block ×3, first 2 shown]
	s_sub_co_i32 s50, 0, s40
	s_sub_co_i32 s51, 0, s41
	;; [unrolled: 1-line block ×3, first 2 shown]
	s_mul_hi_u32 s4, s3, s4
	s_lshl_b32 s44, s29, 1
	s_lshl_b32 s45, s28, 1
	;; [unrolled: 1-line block ×3, first 2 shown]
	v_readfirstlane_b32 s0, v2
	v_readfirstlane_b32 s1, v3
	;; [unrolled: 1-line block ×3, first 2 shown]
	s_ashr_i32 s47, s20, 31
	s_ashr_i32 s48, s7, 31
	s_mul_f32 s0, s0, 0x4f7ffffe
	s_mul_f32 s1, s1, 0x4f7ffffe
	;; [unrolled: 1-line block ×3, first 2 shown]
	s_ashr_i32 s49, s6, 31
	s_wait_alu 0xfffe
	s_cvt_u32_f32 s0, s0
	s_cvt_u32_f32 s1, s1
	;; [unrolled: 1-line block ×3, first 2 shown]
	s_add_co_i32 s53, s3, s4
	s_wait_alu 0xfffe
	s_mul_i32 s50, s50, s0
	s_mul_i32 s51, s51, s1
	;; [unrolled: 1-line block ×3, first 2 shown]
	s_mul_hi_u32 s50, s0, s50
	s_mul_hi_u32 s51, s1, s51
	;; [unrolled: 1-line block ×3, first 2 shown]
	s_add_co_i32 s50, s0, s50
	s_add_co_i32 s51, s1, s51
	;; [unrolled: 1-line block ×3, first 2 shown]
	s_mul_i32 s54, s31, s8
	s_branch .LBB24_4
.LBB24_2:                               ;   in Loop: Header=BB24_4 Depth=1
	s_or_b32 exec_lo, exec_lo, s77
	s_delay_alu instid0(VALU_DEP_1)
	v_cvt_f16_f32_e32 v2, v69
.LBB24_3:                               ;   in Loop: Header=BB24_4 Depth=1
	v_mul_lo_u32 v3, v63, s21
	v_mul_lo_u32 v5, s16, v64
	;; [unrolled: 1-line block ×4, first 2 shown]
	v_add_co_u32 v0, vcc_lo, v0, s43
	s_wait_alu 0xfffd
	v_add_co_ci_u32_e64 v1, null, 0, v1, vcc_lo
	v_ashrrev_i32_e32 v4, 31, v3
	v_ashrrev_i32_e32 v6, 31, v5
	v_ashrrev_i32_e32 v8, 31, v7
	v_mul_lo_u32 v11, s19, v60
	v_ashrrev_i32_e32 v10, 31, v9
	v_lshlrev_b64_e32 v[3:4], 1, v[3:4]
	v_lshlrev_b64_e32 v[5:6], 1, v[5:6]
	s_delay_alu instid0(VALU_DEP_4) | instskip(NEXT) | instid1(VALU_DEP_3)
	v_ashrrev_i32_e32 v12, 31, v11
	v_add_co_u32 v13, vcc_lo, s34, v3
	s_wait_alu 0xfffd
	s_delay_alu instid0(VALU_DEP_4) | instskip(SKIP_1) | instid1(VALU_DEP_3)
	v_add_co_ci_u32_e64 v14, null, s35, v4, vcc_lo
	v_lshlrev_b64_e32 v[3:4], 1, v[7:8]
	v_add_co_u32 v7, vcc_lo, v13, v5
	s_wait_alu 0xfffd
	s_delay_alu instid0(VALU_DEP_3) | instskip(SKIP_1) | instid1(VALU_DEP_3)
	v_add_co_ci_u32_e64 v8, null, v14, v6, vcc_lo
	v_lshlrev_b64_e32 v[5:6], 1, v[9:10]
	v_add_co_u32 v7, vcc_lo, v7, v3
	s_wait_alu 0xfffd
	s_delay_alu instid0(VALU_DEP_3) | instskip(SKIP_1) | instid1(VALU_DEP_3)
	;; [unrolled: 5-line block ×3, first 2 shown]
	v_add_co_ci_u32_e64 v6, null, v8, v6, vcc_lo
	v_cmp_le_i64_e32 vcc_lo, s[22:23], v[0:1]
	v_add_co_u32 v3, s0, v5, v3
	s_wait_alu 0xf1ff
	s_delay_alu instid0(VALU_DEP_3)
	v_add_co_ci_u32_e64 v4, null, v6, v4, s0
	s_or_b32 s25, vcc_lo, s25
	global_store_b16 v[3:4], v2, off
	s_and_not1_b32 exec_lo, exec_lo, s25
	s_cbranch_execz .LBB24_62
.LBB24_4:                               ; =>This Loop Header: Depth=1
                                        ;     Child Loop BB24_7 Depth 2
	v_sub_nc_u32_e32 v2, 0, v0
	s_delay_alu instid0(VALU_DEP_1) | instskip(NEXT) | instid1(VALU_DEP_1)
	v_max_i32_e32 v2, v0, v2
	v_mul_hi_u32 v3, v2, s50
	s_delay_alu instid0(VALU_DEP_1) | instskip(NEXT) | instid1(VALU_DEP_1)
	v_mul_lo_u32 v4, v3, s40
	v_sub_nc_u32_e32 v2, v2, v4
	v_add_nc_u32_e32 v4, 1, v3
	s_delay_alu instid0(VALU_DEP_2) | instskip(SKIP_2) | instid1(VALU_DEP_2)
	v_subrev_nc_u32_e32 v5, s40, v2
	v_cmp_le_u32_e32 vcc_lo, s40, v2
	s_wait_alu 0xfffd
	v_dual_cndmask_b32 v3, v3, v4 :: v_dual_cndmask_b32 v2, v2, v5
	v_ashrrev_i32_e32 v4, 31, v0
	s_delay_alu instid0(VALU_DEP_2) | instskip(NEXT) | instid1(VALU_DEP_3)
	v_add_nc_u32_e32 v5, 1, v3
	v_cmp_le_u32_e32 vcc_lo, s40, v2
	s_delay_alu instid0(VALU_DEP_3) | instskip(SKIP_1) | instid1(VALU_DEP_3)
	v_xor_b32_e32 v4, s47, v4
	s_wait_alu 0xfffd
	v_cndmask_b32_e32 v2, v3, v5, vcc_lo
	s_delay_alu instid0(VALU_DEP_1) | instskip(NEXT) | instid1(VALU_DEP_1)
	v_xor_b32_e32 v2, v2, v4
	v_sub_nc_u32_e32 v2, v2, v4
	s_delay_alu instid0(VALU_DEP_1) | instskip(NEXT) | instid1(VALU_DEP_1)
	v_sub_nc_u32_e32 v3, 0, v2
	v_max_i32_e32 v3, v2, v3
	s_delay_alu instid0(VALU_DEP_1) | instskip(NEXT) | instid1(VALU_DEP_1)
	v_mul_hi_u32 v4, v3, s51
	v_mul_lo_u32 v5, v4, s41
	s_delay_alu instid0(VALU_DEP_1) | instskip(SKIP_1) | instid1(VALU_DEP_2)
	v_sub_nc_u32_e32 v3, v3, v5
	v_add_nc_u32_e32 v5, 1, v4
	v_subrev_nc_u32_e32 v6, s41, v3
	v_cmp_le_u32_e32 vcc_lo, s41, v3
	s_wait_alu 0xfffd
	s_delay_alu instid0(VALU_DEP_2) | instskip(SKIP_1) | instid1(VALU_DEP_2)
	v_dual_cndmask_b32 v4, v4, v5 :: v_dual_cndmask_b32 v3, v3, v6
	v_ashrrev_i32_e32 v5, 31, v2
	v_add_nc_u32_e32 v6, 1, v4
	s_delay_alu instid0(VALU_DEP_3) | instskip(NEXT) | instid1(VALU_DEP_3)
	v_cmp_le_u32_e32 vcc_lo, s41, v3
	v_xor_b32_e32 v5, s48, v5
	s_wait_alu 0xfffd
	s_delay_alu instid0(VALU_DEP_3) | instskip(NEXT) | instid1(VALU_DEP_1)
	v_cndmask_b32_e32 v3, v4, v6, vcc_lo
	v_xor_b32_e32 v3, v3, v5
	s_delay_alu instid0(VALU_DEP_1) | instskip(NEXT) | instid1(VALU_DEP_1)
	v_sub_nc_u32_e32 v3, v3, v5
	v_sub_nc_u32_e32 v4, 0, v3
	s_delay_alu instid0(VALU_DEP_1) | instskip(NEXT) | instid1(VALU_DEP_1)
	v_max_i32_e32 v4, v3, v4
	v_mul_hi_u32 v5, v4, s52
	s_delay_alu instid0(VALU_DEP_1) | instskip(NEXT) | instid1(VALU_DEP_1)
	v_mul_lo_u32 v6, v5, s42
	v_sub_nc_u32_e32 v4, v4, v6
	v_add_nc_u32_e32 v6, 1, v5
	s_delay_alu instid0(VALU_DEP_2) | instskip(SKIP_2) | instid1(VALU_DEP_2)
	v_subrev_nc_u32_e32 v7, s42, v4
	v_cmp_le_u32_e32 vcc_lo, s42, v4
	s_wait_alu 0xfffd
	v_dual_cndmask_b32 v5, v5, v6 :: v_dual_cndmask_b32 v4, v4, v7
	v_ashrrev_i32_e32 v6, 31, v3
	s_delay_alu instid0(VALU_DEP_2) | instskip(NEXT) | instid1(VALU_DEP_3)
	v_add_nc_u32_e32 v7, 1, v5
	v_cmp_le_u32_e32 vcc_lo, s42, v4
	s_delay_alu instid0(VALU_DEP_3) | instskip(SKIP_1) | instid1(VALU_DEP_3)
	v_xor_b32_e32 v6, s49, v6
	s_wait_alu 0xfffd
	v_cndmask_b32_e32 v4, v5, v7, vcc_lo
	s_delay_alu instid0(VALU_DEP_1) | instskip(NEXT) | instid1(VALU_DEP_1)
	v_xor_b32_e32 v4, v4, v6
	v_sub_nc_u32_e32 v4, v4, v6
	s_delay_alu instid0(VALU_DEP_1) | instskip(NEXT) | instid1(VALU_DEP_1)
	v_sub_nc_u32_e32 v5, 0, v4
	v_max_i32_e32 v5, v4, v5
	s_delay_alu instid0(VALU_DEP_1) | instskip(NEXT) | instid1(VALU_DEP_1)
	v_mul_hi_u32 v6, v5, s53
	v_mul_lo_u32 v7, v6, s33
	s_delay_alu instid0(VALU_DEP_1) | instskip(SKIP_1) | instid1(VALU_DEP_2)
	v_sub_nc_u32_e32 v5, v5, v7
	v_add_nc_u32_e32 v7, 1, v6
	v_subrev_nc_u32_e32 v8, s33, v5
	v_cmp_le_u32_e32 vcc_lo, s33, v5
	s_wait_alu 0xfffd
	s_delay_alu instid0(VALU_DEP_2) | instskip(SKIP_1) | instid1(VALU_DEP_2)
	v_dual_cndmask_b32 v6, v6, v7 :: v_dual_cndmask_b32 v5, v5, v8
	v_ashrrev_i32_e32 v7, 31, v4
	v_add_nc_u32_e32 v8, 1, v6
	s_delay_alu instid0(VALU_DEP_3) | instskip(NEXT) | instid1(VALU_DEP_3)
	v_cmp_le_u32_e32 vcc_lo, s33, v5
	v_xor_b32_e32 v7, s38, v7
	s_wait_alu 0xfffd
	s_delay_alu instid0(VALU_DEP_3) | instskip(SKIP_2) | instid1(VALU_DEP_2)
	v_cndmask_b32_e32 v5, v6, v8, vcc_lo
	v_mul_lo_u32 v6, v3, s7
	s_and_not1_b32 vcc_lo, exec_lo, s24
	v_xor_b32_e32 v5, v5, v7
	s_delay_alu instid0(VALU_DEP_2) | instskip(NEXT) | instid1(VALU_DEP_2)
	v_sub_nc_u32_e32 v61, v2, v6
	v_sub_nc_u32_e32 v63, v5, v7
	v_mul_lo_u32 v5, v2, s20
	v_mul_lo_u32 v7, v4, s6
	s_delay_alu instid0(VALU_DEP_3) | instskip(NEXT) | instid1(VALU_DEP_3)
	v_mul_lo_u32 v8, v63, s5
	v_sub_nc_u32_e32 v60, v0, v5
	s_delay_alu instid0(VALU_DEP_3) | instskip(NEXT) | instid1(VALU_DEP_3)
	v_sub_nc_u32_e32 v62, v3, v7
	v_sub_nc_u32_e32 v64, v4, v8
	s_wait_alu 0xfffe
	s_cbranch_vccnz .LBB24_61
; %bb.5:                                ;   in Loop: Header=BB24_4 Depth=1
	s_delay_alu instid0(VALU_DEP_1) | instskip(SKIP_4) | instid1(VALU_DEP_3)
	v_mul_lo_u32 v65, v64, s8
	v_mul_lo_u32 v2, s30, v63
	v_add_nc_u32_e32 v7, s12, v62
	v_add_nc_u32_e32 v37, s13, v61
	v_dual_mov_b32 v69, 0 :: v_dual_add_nc_u32 v4, s14, v60
	v_mul_lo_u32 v16, v7, s10
	v_mul_lo_u32 v5, s39, v65
	v_ashrrev_i32_e32 v3, 31, v2
	s_delay_alu instid0(VALU_DEP_4)
	v_or_b32_e32 v8, v4, v37
	v_subrev_nc_u32_e32 v55, s29, v4
	v_cmp_gt_i32_e64 s0, s10, v37
	v_subrev_nc_u32_e32 v41, s46, v7
	v_lshlrev_b64_e32 v[2:3], 1, v[2:3]
	v_add_nc_u32_e32 v9, v37, v16
	v_ashrrev_i32_e32 v6, 31, v5
	v_subrev_nc_u32_e32 v23, s15, v7
	v_cmp_gt_i32_e32 vcc_lo, s9, v7
	v_subrev_nc_u32_e32 v57, s44, v4
	v_add_co_u32 v67, s1, s26, v2
	v_lshlrev_b64_e32 v[5:6], 1, v[5:6]
	s_wait_alu 0xf1ff
	v_add_co_ci_u32_e64 v68, null, s27, v3, s1
	v_mul_lo_u32 v10, v9, s11
	v_or_b32_e32 v9, v55, v37
	v_or_b32_e32 v42, v8, v41
	v_add_co_u32 v2, s1, s36, v5
	v_or_b32_e32 v5, v8, v7
	s_wait_alu 0xf1ff
	v_add_co_ci_u32_e64 v3, null, s37, v6, s1
	v_cmp_gt_i32_e64 s1, s11, v4
	v_or_b32_e32 v24, v8, v23
	v_cmp_lt_i32_e64 s2, -1, v5
	v_or_b32_e32 v8, v9, v7
	v_or_b32_e32 v11, v57, v37
	s_and_b32 s70, s1, s0
	v_subrev_nc_u32_e32 v44, s28, v37
	s_and_b32 s2, s70, s2
	v_cmp_lt_i32_e64 s3, -1, v8
	s_wait_alu 0xfffe
	s_and_b32 s55, s2, vcc_lo
	v_cmp_gt_i32_e64 s2, s11, v55
	v_or_b32_e32 v12, v11, v7
	v_or_b32_e32 v13, v4, v44
	;; [unrolled: 1-line block ×4, first 2 shown]
	s_and_b32 s71, s2, s0
	v_cmp_lt_i32_e64 s4, -1, v12
	s_and_b32 s3, s71, s3
	v_or_b32_e32 v14, v13, v7
	s_wait_alu 0xfffe
	s_and_b32 s56, s3, vcc_lo
	v_cmp_gt_i32_e64 s3, s11, v57
	v_add_nc_u32_e32 v12, v44, v16
	v_subrev_nc_u32_e32 v49, s45, v37
	v_or_b32_e32 v20, v17, v7
	v_or_b32_e32 v50, v17, v41
	s_and_b32 s72, s3, s0
	v_cmp_gt_i32_e64 s0, s10, v44
	s_and_b32 s4, s72, s4
	v_mul_lo_u32 v18, v12, s11
	s_wait_alu 0xfffe
	s_and_b32 s57, s4, vcc_lo
	v_cmp_lt_i32_e64 s4, -1, v14
	v_or_b32_e32 v14, v15, v7
	s_and_b32 s73, s1, s0
	s_and_b32 s74, s2, s0
	v_or_b32_e32 v19, v4, v49
	s_and_b32 s4, s73, s4
	v_add_nc_u32_e32 v12, v4, v18
	s_wait_alu 0xfffe
	s_and_b32 s58, s4, vcc_lo
	v_cmp_lt_i32_e64 s4, -1, v14
	v_add_nc_u32_e32 v14, v55, v18
	v_or_b32_e32 v31, v17, v23
	v_add_nc_u32_e32 v17, v49, v16
	v_add_nc_u32_e32 v16, v57, v18
	s_and_b32 s4, s74, s4
	v_or_b32_e32 v18, v19, v7
	s_wait_alu 0xfffe
	s_and_b32 s59, s4, vcc_lo
	v_cmp_lt_i32_e64 s4, -1, v20
	s_and_b32 s75, s3, s0
	v_or_b32_e32 v21, v55, v49
	v_cmp_gt_i32_e64 s0, s10, v49
	v_or_b32_e32 v22, v57, v49
	s_and_b32 s4, s75, s4
	v_or_b32_e32 v25, v9, v23
	s_wait_alu 0xfffe
	s_and_b32 s60, s4, vcc_lo
	v_cmp_lt_i32_e64 s4, -1, v18
	v_or_b32_e32 v20, v21, v7
	s_and_b32 s76, s1, s0
	v_or_b32_e32 v7, v22, v7
	s_and_b32 s77, s2, s0
	s_and_b32 s1, s76, s4
	;; [unrolled: 1-line block ×3, first 2 shown]
	s_wait_alu 0xfffe
	s_and_b32 s4, s1, vcc_lo
	v_cmp_lt_i32_e64 s1, -1, v20
	v_cmp_lt_i32_e64 s0, -1, v24
	v_or_b32_e32 v26, v11, v23
	v_or_b32_e32 v27, v13, v23
	;; [unrolled: 1-line block ×3, first 2 shown]
	s_and_b32 s1, s77, s1
	s_and_b32 s0, s70, s0
	s_wait_alu 0xfffe
	s_and_b32 s2, s1, vcc_lo
	v_cmp_lt_i32_e64 s1, -1, v7
	v_or_b32_e32 v33, v19, v23
	v_mul_lo_u32 v32, v23, s10
	v_or_b32_e32 v38, v21, v23
	v_or_b32_e32 v39, v22, v23
	s_and_b32 s1, s78, s1
	v_mul_lo_u32 v28, v17, s11
	s_wait_alu 0xfffe
	s_and_b32 s3, s1, vcc_lo
	v_cmp_gt_i32_e32 vcc_lo, s9, v23
	v_cmp_lt_i32_e64 s1, -1, v25
	v_add_nc_u32_e32 v7, v37, v32
	v_or_b32_e32 v43, v9, v41
	v_or_b32_e32 v58, v22, v41
	s_and_b32 s61, s0, vcc_lo
	v_cmp_lt_i32_e64 s0, -1, v26
	s_and_b32 s1, s71, s1
	v_mul_lo_u32 v7, v7, s11
	s_wait_alu 0xfffe
	s_and_b32 s62, s1, vcc_lo
	v_add_nc_u32_e32 v18, v4, v28
	s_and_b32 s1, s72, s0
	v_cmp_lt_i32_e64 s0, -1, v27
	s_wait_alu 0xfffe
	s_and_b32 s63, s1, vcc_lo
	v_cmp_lt_i32_e64 s1, -1, v29
	v_add_nc_u32_e32 v20, v55, v28
	v_add_nc_u32_e32 v22, v57, v28
	s_and_b32 s0, s73, s0
	v_add_nc_u32_e32 v28, v44, v32
	s_wait_alu 0xfffe
	s_and_b32 s64, s0, vcc_lo
	v_cmp_lt_i32_e64 s0, -1, v31
	s_and_b32 s1, s74, s1
	v_or_b32_e32 v45, v11, v41
	s_wait_alu 0xfffe
	s_and_b32 s65, s1, vcc_lo
	v_add_nc_u32_e32 v24, v4, v7
	s_and_b32 s1, s75, s0
	v_cmp_lt_i32_e64 s0, -1, v33
	s_wait_alu 0xfffe
	s_and_b32 s66, s1, vcc_lo
	v_cmp_lt_i32_e64 s1, -1, v39
	v_add_nc_u32_e32 v26, v55, v7
	v_mul_lo_u32 v34, v28, s11
	s_and_b32 s0, s76, s0
	v_add_nc_u32_e32 v28, v57, v7
	s_wait_alu 0xfffe
	s_and_b32 s67, s0, vcc_lo
	v_cmp_lt_i32_e64 s0, -1, v38
	s_and_b32 s1, s78, s1
	v_add_nc_u32_e32 v7, v49, v32
	s_wait_alu 0xfffe
	s_and_b32 s69, s1, vcc_lo
	v_mul_lo_u32 v52, v41, s10
	s_and_b32 s0, s77, s0
	v_or_b32_e32 v47, v15, v41
	s_wait_alu 0xfffe
	s_and_b32 s68, s0, vcc_lo
	v_cmp_lt_i32_e64 s0, -1, v42
	v_cmp_gt_i32_e32 vcc_lo, s9, v41
	v_mul_lo_u32 v7, v7, s11
	v_or_b32_e32 v46, v13, v41
	v_add_nc_u32_e32 v40, v37, v52
	s_and_b32 s1, s70, s0
	v_cmp_lt_i32_e64 s0, -1, v43
	s_wait_alu 0xfffe
	s_and_b32 s70, s1, vcc_lo
	v_or_b32_e32 v51, v19, v41
	v_mul_lo_u32 v48, v40, s11
	v_add_nc_u32_e32 v36, v4, v7
	s_and_b32 s1, s71, s0
	v_cmp_lt_i32_e64 s0, -1, v45
	s_wait_alu 0xfffe
	s_and_b32 s71, s1, vcc_lo
	v_cmp_lt_i32_e64 s1, -1, v46
	v_add_nc_u32_e32 v38, v55, v7
	v_add_nc_u32_e32 v40, v57, v7
	s_and_b32 s0, s72, s0
	v_add_nc_u32_e32 v7, v44, v52
	s_wait_alu 0xfffe
	s_and_b32 s72, s0, vcc_lo
	v_cmp_lt_i32_e64 s0, -1, v47
	v_add_nc_u32_e32 v52, v49, v52
	s_and_b32 s1, s73, s1
	v_mul_lo_u32 v7, v7, s11
	s_wait_alu 0xfffe
	s_and_b32 s73, s1, vcc_lo
	s_and_b32 s0, s74, s0
	v_mul_lo_u32 v59, v52, s11
	s_wait_alu 0xfffe
	s_and_b32 s74, s0, vcc_lo
	v_cmp_lt_i32_e64 s0, -1, v50
	v_cmp_lt_i32_e64 s1, -1, v51
	v_or_b32_e32 v56, v21, v41
	v_add_nc_u32_e32 v5, v4, v10
	v_add_nc_u32_e32 v8, v55, v10
	s_and_b32 s0, s75, s0
	v_add_nc_u32_e32 v10, v57, v10
	s_wait_alu 0xfffe
	s_and_b32 s75, s0, vcc_lo
	s_and_b32 s0, s76, s1
	v_add_nc_u32_e32 v30, v4, v34
	v_add_nc_u32_e32 v32, v55, v34
	v_add_nc_u32_e32 v34, v57, v34
	v_add_nc_u32_e32 v42, v4, v48
	v_add_nc_u32_e32 v44, v55, v48
	v_add_nc_u32_e32 v46, v57, v48
	v_add_nc_u32_e32 v48, v4, v7
	v_add_nc_u32_e32 v50, v55, v7
	v_add_nc_u32_e32 v52, v57, v7
	s_wait_alu 0xfffe
	s_and_b32 s76, s0, vcc_lo
	v_add_nc_u32_e32 v54, v4, v59
	v_cmp_lt_i32_e64 s0, -1, v56
	v_add_nc_u32_e32 v56, v55, v59
	v_cmp_lt_i32_e64 s1, -1, v58
	v_add_nc_u32_e32 v58, v57, v59
	v_ashrrev_i32_e32 v6, 31, v5
	v_ashrrev_i32_e32 v9, 31, v8
	;; [unrolled: 1-line block ×27, first 2 shown]
	v_mul_lo_u32 v4, s54, v64
	v_lshlrev_b64_e32 v[6:7], 1, v[5:6]
	v_lshlrev_b64_e32 v[8:9], 1, v[8:9]
	;; [unrolled: 1-line block ×27, first 2 shown]
	v_add_nc_u32_e32 v66, s8, v65
	s_and_b32 s0, s77, s0
	s_and_b32 s77, s78, s1
	s_wait_alu 0xfffe
	s_and_b32 s1, s0, vcc_lo
	s_and_b32 s78, s77, vcc_lo
	s_mov_b32 s77, 0
	s_branch .LBB24_7
.LBB24_6:                               ;   in Loop: Header=BB24_7 Depth=2
	s_wait_alu 0xfffe
	s_or_b32 exec_lo, exec_lo, s0
	s_wait_loadcnt 0x1a
	v_fma_mix_f32 v5, v5, v70, v69 op_sel_hi:[0,1,0]
	v_add_nc_u32_e32 v65, 1, v65
	v_add_co_u32 v2, s0, v2, 54
	s_wait_alu 0xf1ff
	v_add_co_ci_u32_e64 v3, null, 0, v3, s0
	s_wait_loadcnt 0x19
	v_fma_mix_f32 v5, v75, v73, v5 op_sel_hi:[0,1,0]
	v_cmp_ge_i32_e32 vcc_lo, v65, v66
	v_add_nc_u32_e32 v4, s31, v4
	s_wait_loadcnt 0x18
	s_delay_alu instid0(VALU_DEP_3) | instskip(SKIP_2) | instid1(VALU_DEP_1)
	v_fma_mix_f32 v5, v74, v76, v5 op_sel_hi:[0,1,0]
	s_or_b32 s77, vcc_lo, s77
	s_wait_loadcnt 0x17
	v_fma_mix_f32 v5, v79, v77, v5 op_sel_hi:[0,1,0]
	s_wait_loadcnt 0x16
	s_delay_alu instid0(VALU_DEP_1) | instskip(SKIP_1) | instid1(VALU_DEP_1)
	v_fma_mix_f32 v5, v78, v80, v5 op_sel_hi:[0,1,0]
	s_wait_loadcnt 0x15
	v_fma_mix_f32 v5, v83, v81, v5 op_sel_hi:[0,1,0]
	s_wait_loadcnt 0x14
	s_delay_alu instid0(VALU_DEP_1) | instskip(SKIP_1) | instid1(VALU_DEP_1)
	v_fma_mix_f32 v5, v82, v84, v5 op_sel_hi:[0,1,0]
	s_wait_loadcnt 0x13
	v_fma_mix_f32 v5, v87, v85, v5 op_sel_hi:[0,1,0]
	s_wait_loadcnt 0x12
	s_delay_alu instid0(VALU_DEP_1) | instskip(SKIP_1) | instid1(VALU_DEP_1)
	v_fma_mix_f32 v5, v86, v88, v5 op_sel_hi:[0,1,0]
	s_wait_loadcnt 0x11
	v_fma_mix_f32 v5, v91, v89, v5 op_sel_hi:[0,1,0]
	s_wait_loadcnt 0x10
	s_delay_alu instid0(VALU_DEP_1) | instskip(SKIP_1) | instid1(VALU_DEP_1)
	v_fma_mix_f32 v5, v90, v92, v5 op_sel_hi:[0,1,0]
	s_wait_loadcnt 0xf
	v_fma_mix_f32 v5, v95, v93, v5 op_sel_hi:[0,1,0]
	s_wait_loadcnt 0xe
	s_delay_alu instid0(VALU_DEP_1) | instskip(SKIP_1) | instid1(VALU_DEP_1)
	v_fma_mix_f32 v5, v94, v96, v5 op_sel_hi:[0,1,0]
	s_wait_loadcnt 0xd
	v_fma_mix_f32 v5, v99, v97, v5 op_sel_hi:[0,1,0]
	s_wait_loadcnt 0xc
	s_delay_alu instid0(VALU_DEP_1) | instskip(SKIP_1) | instid1(VALU_DEP_1)
	v_fma_mix_f32 v5, v98, v100, v5 op_sel_hi:[0,1,0]
	s_wait_loadcnt 0xb
	v_fma_mix_f32 v5, v103, v101, v5 op_sel_hi:[0,1,0]
	s_wait_loadcnt 0xa
	s_delay_alu instid0(VALU_DEP_1) | instskip(SKIP_1) | instid1(VALU_DEP_1)
	v_fma_mix_f32 v5, v102, v104, v5 op_sel_hi:[0,1,0]
	s_wait_loadcnt 0x9
	v_fma_mix_f32 v5, v107, v105, v5 op_sel_hi:[0,1,0]
	s_wait_loadcnt 0x8
	s_delay_alu instid0(VALU_DEP_1) | instskip(SKIP_1) | instid1(VALU_DEP_1)
	v_fma_mix_f32 v5, v106, v108, v5 op_sel_hi:[0,1,0]
	s_wait_loadcnt 0x7
	v_fma_mix_f32 v5, v111, v109, v5 op_sel_hi:[0,1,0]
	s_wait_loadcnt 0x6
	s_delay_alu instid0(VALU_DEP_1) | instskip(SKIP_1) | instid1(VALU_DEP_1)
	v_fma_mix_f32 v5, v110, v112, v5 op_sel_hi:[0,1,0]
	s_wait_loadcnt 0x5
	v_fma_mix_f32 v5, v115, v113, v5 op_sel_hi:[0,1,0]
	s_wait_loadcnt 0x4
	s_delay_alu instid0(VALU_DEP_1) | instskip(SKIP_1) | instid1(VALU_DEP_1)
	v_fma_mix_f32 v5, v114, v116, v5 op_sel_hi:[0,1,0]
	s_wait_loadcnt 0x3
	v_fma_mix_f32 v5, v119, v118, v5 op_sel_hi:[0,1,0]
	s_wait_loadcnt 0x2
	s_delay_alu instid0(VALU_DEP_1) | instskip(SKIP_1) | instid1(VALU_DEP_1)
	v_fma_mix_f32 v5, v117, v120, v5 op_sel_hi:[0,1,0]
	s_wait_loadcnt 0x1
	v_fma_mix_f32 v5, v123, v121, v5 op_sel_hi:[0,1,0]
	s_wait_loadcnt 0x0
	s_delay_alu instid0(VALU_DEP_1)
	v_fma_mix_f32 v69, v122, v124, v5 op_sel_hi:[0,1,0]
	s_and_not1_b32 exec_lo, exec_lo, s77
	s_cbranch_execz .LBB24_2
.LBB24_7:                               ;   Parent Loop BB24_4 Depth=1
                                        ; =>  This Inner Loop Header: Depth=2
	global_load_u16 v70, v[2:3], off
	v_ashrrev_i32_e32 v5, 31, v4
	s_delay_alu instid0(VALU_DEP_1) | instskip(SKIP_1) | instid1(VALU_DEP_2)
	v_lshlrev_b64_e32 v[71:72], 1, v[4:5]
	v_mov_b32_e32 v5, 0
	v_add_co_u32 v71, vcc_lo, v67, v71
	s_wait_alu 0xfffd
	s_delay_alu instid0(VALU_DEP_3)
	v_add_co_ci_u32_e64 v72, null, v68, v72, vcc_lo
	s_and_saveexec_b32 s0, s55
	s_cbranch_execz .LBB24_9
; %bb.8:                                ;   in Loop: Header=BB24_7 Depth=2
	v_add_co_u32 v73, vcc_lo, v71, v6
	s_wait_alu 0xfffd
	v_add_co_ci_u32_e64 v74, null, v72, v7, vcc_lo
	global_load_u16 v5, v[73:74], off
	s_wait_loadcnt 0x0
	v_cvt_f32_f16_e32 v5, v5
.LBB24_9:                               ;   in Loop: Header=BB24_7 Depth=2
	s_wait_alu 0xfffe
	s_or_b32 exec_lo, exec_lo, s0
	global_load_u16 v73, v[2:3], off offset:2
	v_dual_mov_b32 v74, 0 :: v_dual_mov_b32 v75, 0
	s_and_saveexec_b32 s0, s56
	s_cbranch_execz .LBB24_11
; %bb.10:                               ;   in Loop: Header=BB24_7 Depth=2
	v_add_co_u32 v75, vcc_lo, v71, v8
	s_wait_alu 0xfffd
	v_add_co_ci_u32_e64 v76, null, v72, v9, vcc_lo
	global_load_u16 v75, v[75:76], off
	s_wait_loadcnt 0x0
	v_cvt_f32_f16_e32 v75, v75
.LBB24_11:                              ;   in Loop: Header=BB24_7 Depth=2
	s_wait_alu 0xfffe
	s_or_b32 exec_lo, exec_lo, s0
	global_load_u16 v76, v[2:3], off offset:4
	s_and_saveexec_b32 s0, s57
	s_cbranch_execz .LBB24_13
; %bb.12:                               ;   in Loop: Header=BB24_7 Depth=2
	v_add_co_u32 v77, vcc_lo, v71, v10
	s_wait_alu 0xfffd
	v_add_co_ci_u32_e64 v78, null, v72, v11, vcc_lo
	global_load_u16 v74, v[77:78], off
	s_wait_loadcnt 0x0
	v_cvt_f32_f16_e32 v74, v74
.LBB24_13:                              ;   in Loop: Header=BB24_7 Depth=2
	s_wait_alu 0xfffe
	s_or_b32 exec_lo, exec_lo, s0
	global_load_u16 v77, v[2:3], off offset:6
	v_dual_mov_b32 v78, 0 :: v_dual_mov_b32 v79, 0
	s_and_saveexec_b32 s0, s58
	s_cbranch_execz .LBB24_15
; %bb.14:                               ;   in Loop: Header=BB24_7 Depth=2
	v_add_co_u32 v79, vcc_lo, v71, v12
	s_wait_alu 0xfffd
	v_add_co_ci_u32_e64 v80, null, v72, v13, vcc_lo
	global_load_u16 v79, v[79:80], off
	s_wait_loadcnt 0x0
	v_cvt_f32_f16_e32 v79, v79
.LBB24_15:                              ;   in Loop: Header=BB24_7 Depth=2
	s_wait_alu 0xfffe
	s_or_b32 exec_lo, exec_lo, s0
	global_load_u16 v80, v[2:3], off offset:8
	s_and_saveexec_b32 s0, s59
	s_cbranch_execz .LBB24_17
; %bb.16:                               ;   in Loop: Header=BB24_7 Depth=2
	v_add_co_u32 v81, vcc_lo, v71, v14
	s_wait_alu 0xfffd
	v_add_co_ci_u32_e64 v82, null, v72, v15, vcc_lo
	global_load_u16 v78, v[81:82], off
	s_wait_loadcnt 0x0
	v_cvt_f32_f16_e32 v78, v78
.LBB24_17:                              ;   in Loop: Header=BB24_7 Depth=2
	;; [unrolled: 27-line block ×11, first 2 shown]
	s_wait_alu 0xfffe
	s_or_b32 exec_lo, exec_lo, s0
	global_load_u16 v118, v[2:3], off offset:46
	v_mov_b32_e32 v117, 0
	v_mov_b32_e32 v119, 0
	s_and_saveexec_b32 s0, s75
	s_cbranch_execz .LBB24_55
; %bb.54:                               ;   in Loop: Header=BB24_7 Depth=2
	v_add_co_u32 v119, vcc_lo, v71, v52
	s_wait_alu 0xfffd
	v_add_co_ci_u32_e64 v120, null, v72, v53, vcc_lo
	global_load_u16 v119, v[119:120], off
	s_wait_loadcnt 0x0
	v_cvt_f32_f16_e32 v119, v119
.LBB24_55:                              ;   in Loop: Header=BB24_7 Depth=2
	s_wait_alu 0xfffe
	s_or_b32 exec_lo, exec_lo, s0
	global_load_u16 v120, v[2:3], off offset:48
	s_and_saveexec_b32 s0, s76
	s_cbranch_execz .LBB24_57
; %bb.56:                               ;   in Loop: Header=BB24_7 Depth=2
	v_add_co_u32 v121, vcc_lo, v71, v54
	s_wait_alu 0xfffd
	v_add_co_ci_u32_e64 v122, null, v72, v55, vcc_lo
	global_load_u16 v117, v[121:122], off
	s_wait_loadcnt 0x0
	v_cvt_f32_f16_e32 v117, v117
.LBB24_57:                              ;   in Loop: Header=BB24_7 Depth=2
	s_wait_alu 0xfffe
	s_or_b32 exec_lo, exec_lo, s0
	global_load_u16 v121, v[2:3], off offset:50
	v_dual_mov_b32 v122, 0 :: v_dual_mov_b32 v123, 0
	s_and_saveexec_b32 s0, s1
	s_cbranch_execz .LBB24_59
; %bb.58:                               ;   in Loop: Header=BB24_7 Depth=2
	v_add_co_u32 v123, vcc_lo, v71, v56
	s_wait_alu 0xfffd
	v_add_co_ci_u32_e64 v124, null, v72, v57, vcc_lo
	global_load_u16 v123, v[123:124], off
	s_wait_loadcnt 0x0
	v_cvt_f32_f16_e32 v123, v123
.LBB24_59:                              ;   in Loop: Header=BB24_7 Depth=2
	s_wait_alu 0xfffe
	s_or_b32 exec_lo, exec_lo, s0
	global_load_u16 v124, v[2:3], off offset:52
	s_and_saveexec_b32 s0, s78
	s_cbranch_execz .LBB24_6
; %bb.60:                               ;   in Loop: Header=BB24_7 Depth=2
	v_add_co_u32 v71, vcc_lo, v71, v58
	s_wait_alu 0xfffd
	v_add_co_ci_u32_e64 v72, null, v72, v59, vcc_lo
	global_load_u16 v71, v[71:72], off
	s_wait_loadcnt 0x0
	v_cvt_f32_f16_e32 v122, v71
	s_branch .LBB24_6
.LBB24_61:                              ;   in Loop: Header=BB24_4 Depth=1
	v_mov_b32_e32 v2, 0
	s_branch .LBB24_3
.LBB24_62:
	s_nop 0
	s_sendmsg sendmsg(MSG_DEALLOC_VGPRS)
	s_endpgm
	.section	.rodata,"a",@progbits
	.p2align	6, 0x0
	.amdhsa_kernel _ZN2at6native12_GLOBAL__N_143conv_depthwise3d_cuda_backward_input_kernelIN3c104HalfEfLi3ELi3ELi3ELin1ELin1ELin1ELi1ELi1ELi1EEEvN5torch10headeronly6detail27GenericPackedTensorAccessorINS7_14TensorAccessorINS3_8ArrayRefIlEEKT_Lm4ENS6_16DefaultPtrTraitsEiEENS_6detail16IndexBoundsCheckILm5EiEESD_Lm5ESE_iEENS8_INS9_ISB_SC_Lm4ESE_iEESI_SC_Lm5ESE_iEESJ_iiiiiiiii
		.amdhsa_group_segment_fixed_size 0
		.amdhsa_private_segment_fixed_size 0
		.amdhsa_kernarg_size 440
		.amdhsa_user_sgpr_count 2
		.amdhsa_user_sgpr_dispatch_ptr 0
		.amdhsa_user_sgpr_queue_ptr 0
		.amdhsa_user_sgpr_kernarg_segment_ptr 1
		.amdhsa_user_sgpr_dispatch_id 0
		.amdhsa_user_sgpr_private_segment_size 0
		.amdhsa_wavefront_size32 1
		.amdhsa_uses_dynamic_stack 0
		.amdhsa_enable_private_segment 0
		.amdhsa_system_sgpr_workgroup_id_x 1
		.amdhsa_system_sgpr_workgroup_id_y 0
		.amdhsa_system_sgpr_workgroup_id_z 0
		.amdhsa_system_sgpr_workgroup_info 0
		.amdhsa_system_vgpr_workitem_id 0
		.amdhsa_next_free_vgpr 125
		.amdhsa_next_free_sgpr 79
		.amdhsa_reserve_vcc 1
		.amdhsa_float_round_mode_32 0
		.amdhsa_float_round_mode_16_64 0
		.amdhsa_float_denorm_mode_32 3
		.amdhsa_float_denorm_mode_16_64 3
		.amdhsa_fp16_overflow 0
		.amdhsa_workgroup_processor_mode 1
		.amdhsa_memory_ordered 1
		.amdhsa_forward_progress 1
		.amdhsa_inst_pref_size 40
		.amdhsa_round_robin_scheduling 0
		.amdhsa_exception_fp_ieee_invalid_op 0
		.amdhsa_exception_fp_denorm_src 0
		.amdhsa_exception_fp_ieee_div_zero 0
		.amdhsa_exception_fp_ieee_overflow 0
		.amdhsa_exception_fp_ieee_underflow 0
		.amdhsa_exception_fp_ieee_inexact 0
		.amdhsa_exception_int_div_zero 0
	.end_amdhsa_kernel
	.section	.text._ZN2at6native12_GLOBAL__N_143conv_depthwise3d_cuda_backward_input_kernelIN3c104HalfEfLi3ELi3ELi3ELin1ELin1ELin1ELi1ELi1ELi1EEEvN5torch10headeronly6detail27GenericPackedTensorAccessorINS7_14TensorAccessorINS3_8ArrayRefIlEEKT_Lm4ENS6_16DefaultPtrTraitsEiEENS_6detail16IndexBoundsCheckILm5EiEESD_Lm5ESE_iEENS8_INS9_ISB_SC_Lm4ESE_iEESI_SC_Lm5ESE_iEESJ_iiiiiiiii,"axG",@progbits,_ZN2at6native12_GLOBAL__N_143conv_depthwise3d_cuda_backward_input_kernelIN3c104HalfEfLi3ELi3ELi3ELin1ELin1ELin1ELi1ELi1ELi1EEEvN5torch10headeronly6detail27GenericPackedTensorAccessorINS7_14TensorAccessorINS3_8ArrayRefIlEEKT_Lm4ENS6_16DefaultPtrTraitsEiEENS_6detail16IndexBoundsCheckILm5EiEESD_Lm5ESE_iEENS8_INS9_ISB_SC_Lm4ESE_iEESI_SC_Lm5ESE_iEESJ_iiiiiiiii,comdat
.Lfunc_end24:
	.size	_ZN2at6native12_GLOBAL__N_143conv_depthwise3d_cuda_backward_input_kernelIN3c104HalfEfLi3ELi3ELi3ELin1ELin1ELin1ELi1ELi1ELi1EEEvN5torch10headeronly6detail27GenericPackedTensorAccessorINS7_14TensorAccessorINS3_8ArrayRefIlEEKT_Lm4ENS6_16DefaultPtrTraitsEiEENS_6detail16IndexBoundsCheckILm5EiEESD_Lm5ESE_iEENS8_INS9_ISB_SC_Lm4ESE_iEESI_SC_Lm5ESE_iEESJ_iiiiiiiii, .Lfunc_end24-_ZN2at6native12_GLOBAL__N_143conv_depthwise3d_cuda_backward_input_kernelIN3c104HalfEfLi3ELi3ELi3ELin1ELin1ELin1ELi1ELi1ELi1EEEvN5torch10headeronly6detail27GenericPackedTensorAccessorINS7_14TensorAccessorINS3_8ArrayRefIlEEKT_Lm4ENS6_16DefaultPtrTraitsEiEENS_6detail16IndexBoundsCheckILm5EiEESD_Lm5ESE_iEENS8_INS9_ISB_SC_Lm4ESE_iEESI_SC_Lm5ESE_iEESJ_iiiiiiiii
                                        ; -- End function
	.set _ZN2at6native12_GLOBAL__N_143conv_depthwise3d_cuda_backward_input_kernelIN3c104HalfEfLi3ELi3ELi3ELin1ELin1ELin1ELi1ELi1ELi1EEEvN5torch10headeronly6detail27GenericPackedTensorAccessorINS7_14TensorAccessorINS3_8ArrayRefIlEEKT_Lm4ENS6_16DefaultPtrTraitsEiEENS_6detail16IndexBoundsCheckILm5EiEESD_Lm5ESE_iEENS8_INS9_ISB_SC_Lm4ESE_iEESI_SC_Lm5ESE_iEESJ_iiiiiiiii.num_vgpr, 125
	.set _ZN2at6native12_GLOBAL__N_143conv_depthwise3d_cuda_backward_input_kernelIN3c104HalfEfLi3ELi3ELi3ELin1ELin1ELin1ELi1ELi1ELi1EEEvN5torch10headeronly6detail27GenericPackedTensorAccessorINS7_14TensorAccessorINS3_8ArrayRefIlEEKT_Lm4ENS6_16DefaultPtrTraitsEiEENS_6detail16IndexBoundsCheckILm5EiEESD_Lm5ESE_iEENS8_INS9_ISB_SC_Lm4ESE_iEESI_SC_Lm5ESE_iEESJ_iiiiiiiii.num_agpr, 0
	.set _ZN2at6native12_GLOBAL__N_143conv_depthwise3d_cuda_backward_input_kernelIN3c104HalfEfLi3ELi3ELi3ELin1ELin1ELin1ELi1ELi1ELi1EEEvN5torch10headeronly6detail27GenericPackedTensorAccessorINS7_14TensorAccessorINS3_8ArrayRefIlEEKT_Lm4ENS6_16DefaultPtrTraitsEiEENS_6detail16IndexBoundsCheckILm5EiEESD_Lm5ESE_iEENS8_INS9_ISB_SC_Lm4ESE_iEESI_SC_Lm5ESE_iEESJ_iiiiiiiii.numbered_sgpr, 79
	.set _ZN2at6native12_GLOBAL__N_143conv_depthwise3d_cuda_backward_input_kernelIN3c104HalfEfLi3ELi3ELi3ELin1ELin1ELin1ELi1ELi1ELi1EEEvN5torch10headeronly6detail27GenericPackedTensorAccessorINS7_14TensorAccessorINS3_8ArrayRefIlEEKT_Lm4ENS6_16DefaultPtrTraitsEiEENS_6detail16IndexBoundsCheckILm5EiEESD_Lm5ESE_iEENS8_INS9_ISB_SC_Lm4ESE_iEESI_SC_Lm5ESE_iEESJ_iiiiiiiii.num_named_barrier, 0
	.set _ZN2at6native12_GLOBAL__N_143conv_depthwise3d_cuda_backward_input_kernelIN3c104HalfEfLi3ELi3ELi3ELin1ELin1ELin1ELi1ELi1ELi1EEEvN5torch10headeronly6detail27GenericPackedTensorAccessorINS7_14TensorAccessorINS3_8ArrayRefIlEEKT_Lm4ENS6_16DefaultPtrTraitsEiEENS_6detail16IndexBoundsCheckILm5EiEESD_Lm5ESE_iEENS8_INS9_ISB_SC_Lm4ESE_iEESI_SC_Lm5ESE_iEESJ_iiiiiiiii.private_seg_size, 0
	.set _ZN2at6native12_GLOBAL__N_143conv_depthwise3d_cuda_backward_input_kernelIN3c104HalfEfLi3ELi3ELi3ELin1ELin1ELin1ELi1ELi1ELi1EEEvN5torch10headeronly6detail27GenericPackedTensorAccessorINS7_14TensorAccessorINS3_8ArrayRefIlEEKT_Lm4ENS6_16DefaultPtrTraitsEiEENS_6detail16IndexBoundsCheckILm5EiEESD_Lm5ESE_iEENS8_INS9_ISB_SC_Lm4ESE_iEESI_SC_Lm5ESE_iEESJ_iiiiiiiii.uses_vcc, 1
	.set _ZN2at6native12_GLOBAL__N_143conv_depthwise3d_cuda_backward_input_kernelIN3c104HalfEfLi3ELi3ELi3ELin1ELin1ELin1ELi1ELi1ELi1EEEvN5torch10headeronly6detail27GenericPackedTensorAccessorINS7_14TensorAccessorINS3_8ArrayRefIlEEKT_Lm4ENS6_16DefaultPtrTraitsEiEENS_6detail16IndexBoundsCheckILm5EiEESD_Lm5ESE_iEENS8_INS9_ISB_SC_Lm4ESE_iEESI_SC_Lm5ESE_iEESJ_iiiiiiiii.uses_flat_scratch, 0
	.set _ZN2at6native12_GLOBAL__N_143conv_depthwise3d_cuda_backward_input_kernelIN3c104HalfEfLi3ELi3ELi3ELin1ELin1ELin1ELi1ELi1ELi1EEEvN5torch10headeronly6detail27GenericPackedTensorAccessorINS7_14TensorAccessorINS3_8ArrayRefIlEEKT_Lm4ENS6_16DefaultPtrTraitsEiEENS_6detail16IndexBoundsCheckILm5EiEESD_Lm5ESE_iEENS8_INS9_ISB_SC_Lm4ESE_iEESI_SC_Lm5ESE_iEESJ_iiiiiiiii.has_dyn_sized_stack, 0
	.set _ZN2at6native12_GLOBAL__N_143conv_depthwise3d_cuda_backward_input_kernelIN3c104HalfEfLi3ELi3ELi3ELin1ELin1ELin1ELi1ELi1ELi1EEEvN5torch10headeronly6detail27GenericPackedTensorAccessorINS7_14TensorAccessorINS3_8ArrayRefIlEEKT_Lm4ENS6_16DefaultPtrTraitsEiEENS_6detail16IndexBoundsCheckILm5EiEESD_Lm5ESE_iEENS8_INS9_ISB_SC_Lm4ESE_iEESI_SC_Lm5ESE_iEESJ_iiiiiiiii.has_recursion, 0
	.set _ZN2at6native12_GLOBAL__N_143conv_depthwise3d_cuda_backward_input_kernelIN3c104HalfEfLi3ELi3ELi3ELin1ELin1ELin1ELi1ELi1ELi1EEEvN5torch10headeronly6detail27GenericPackedTensorAccessorINS7_14TensorAccessorINS3_8ArrayRefIlEEKT_Lm4ENS6_16DefaultPtrTraitsEiEENS_6detail16IndexBoundsCheckILm5EiEESD_Lm5ESE_iEENS8_INS9_ISB_SC_Lm4ESE_iEESI_SC_Lm5ESE_iEESJ_iiiiiiiii.has_indirect_call, 0
	.section	.AMDGPU.csdata,"",@progbits
; Kernel info:
; codeLenInByte = 5112
; TotalNumSgprs: 81
; NumVgprs: 125
; ScratchSize: 0
; MemoryBound: 0
; FloatMode: 240
; IeeeMode: 1
; LDSByteSize: 0 bytes/workgroup (compile time only)
; SGPRBlocks: 0
; VGPRBlocks: 15
; NumSGPRsForWavesPerEU: 81
; NumVGPRsForWavesPerEU: 125
; Occupancy: 10
; WaveLimiterHint : 0
; COMPUTE_PGM_RSRC2:SCRATCH_EN: 0
; COMPUTE_PGM_RSRC2:USER_SGPR: 2
; COMPUTE_PGM_RSRC2:TRAP_HANDLER: 0
; COMPUTE_PGM_RSRC2:TGID_X_EN: 1
; COMPUTE_PGM_RSRC2:TGID_Y_EN: 0
; COMPUTE_PGM_RSRC2:TGID_Z_EN: 0
; COMPUTE_PGM_RSRC2:TIDIG_COMP_CNT: 0
	.section	.text._ZN2at6native12_GLOBAL__N_143conv_depthwise3d_cuda_backward_input_kernelIN3c104HalfEfLi3ELi3ELi3ELin1ELin1ELin1ELin1ELin1ELin1EEEvN5torch10headeronly6detail27GenericPackedTensorAccessorINS7_14TensorAccessorINS3_8ArrayRefIlEEKT_Lm4ENS6_16DefaultPtrTraitsEiEENS_6detail16IndexBoundsCheckILm5EiEESD_Lm5ESE_iEENS8_INS9_ISB_SC_Lm4ESE_iEESI_SC_Lm5ESE_iEESJ_iiiiiiiii,"axG",@progbits,_ZN2at6native12_GLOBAL__N_143conv_depthwise3d_cuda_backward_input_kernelIN3c104HalfEfLi3ELi3ELi3ELin1ELin1ELin1ELin1ELin1ELin1EEEvN5torch10headeronly6detail27GenericPackedTensorAccessorINS7_14TensorAccessorINS3_8ArrayRefIlEEKT_Lm4ENS6_16DefaultPtrTraitsEiEENS_6detail16IndexBoundsCheckILm5EiEESD_Lm5ESE_iEENS8_INS9_ISB_SC_Lm4ESE_iEESI_SC_Lm5ESE_iEESJ_iiiiiiiii,comdat
	.globl	_ZN2at6native12_GLOBAL__N_143conv_depthwise3d_cuda_backward_input_kernelIN3c104HalfEfLi3ELi3ELi3ELin1ELin1ELin1ELin1ELin1ELin1EEEvN5torch10headeronly6detail27GenericPackedTensorAccessorINS7_14TensorAccessorINS3_8ArrayRefIlEEKT_Lm4ENS6_16DefaultPtrTraitsEiEENS_6detail16IndexBoundsCheckILm5EiEESD_Lm5ESE_iEENS8_INS9_ISB_SC_Lm4ESE_iEESI_SC_Lm5ESE_iEESJ_iiiiiiiii ; -- Begin function _ZN2at6native12_GLOBAL__N_143conv_depthwise3d_cuda_backward_input_kernelIN3c104HalfEfLi3ELi3ELi3ELin1ELin1ELin1ELin1ELin1ELin1EEEvN5torch10headeronly6detail27GenericPackedTensorAccessorINS7_14TensorAccessorINS3_8ArrayRefIlEEKT_Lm4ENS6_16DefaultPtrTraitsEiEENS_6detail16IndexBoundsCheckILm5EiEESD_Lm5ESE_iEENS8_INS9_ISB_SC_Lm4ESE_iEESI_SC_Lm5ESE_iEESJ_iiiiiiiii
	.p2align	8
	.type	_ZN2at6native12_GLOBAL__N_143conv_depthwise3d_cuda_backward_input_kernelIN3c104HalfEfLi3ELi3ELi3ELin1ELin1ELin1ELin1ELin1ELin1EEEvN5torch10headeronly6detail27GenericPackedTensorAccessorINS7_14TensorAccessorINS3_8ArrayRefIlEEKT_Lm4ENS6_16DefaultPtrTraitsEiEENS_6detail16IndexBoundsCheckILm5EiEESD_Lm5ESE_iEENS8_INS9_ISB_SC_Lm4ESE_iEESI_SC_Lm5ESE_iEESJ_iiiiiiiii,@function
_ZN2at6native12_GLOBAL__N_143conv_depthwise3d_cuda_backward_input_kernelIN3c104HalfEfLi3ELi3ELi3ELin1ELin1ELin1ELin1ELin1ELin1EEEvN5torch10headeronly6detail27GenericPackedTensorAccessorINS7_14TensorAccessorINS3_8ArrayRefIlEEKT_Lm4ENS6_16DefaultPtrTraitsEiEENS_6detail16IndexBoundsCheckILm5EiEESD_Lm5ESE_iEENS8_INS9_ISB_SC_Lm4ESE_iEESI_SC_Lm5ESE_iEESJ_iiiiiiiii: ; @_ZN2at6native12_GLOBAL__N_143conv_depthwise3d_cuda_backward_input_kernelIN3c104HalfEfLi3ELi3ELi3ELin1ELin1ELin1ELin1ELin1ELin1EEEvN5torch10headeronly6detail27GenericPackedTensorAccessorINS7_14TensorAccessorINS3_8ArrayRefIlEEKT_Lm4ENS6_16DefaultPtrTraitsEiEENS_6detail16IndexBoundsCheckILm5EiEESD_Lm5ESE_iEENS8_INS9_ISB_SC_Lm4ESE_iEESI_SC_Lm5ESE_iEESJ_iiiiiiiii
; %bb.0:
	s_clause 0x2
	s_load_b128 s[44:47], s[0:1], 0x38
	s_load_b32 s2, s[0:1], 0xc4
	s_load_b64 s[64:65], s[0:1], 0x48
	v_mov_b32_e32 v1, 0
                                        ; implicit-def: $vgpr125 : SGPR spill to VGPR lane
	s_wait_kmcnt 0x0
	s_abs_i32 s78, s45
	s_and_b32 s2, s2, 0xffff
	s_cvt_f32_u32 s3, s78
	v_mad_co_u64_u32 v[0:1], null, s2, ttmp9, v[0:1]
	s_mul_i32 s4, s65, s44
	s_delay_alu instid0(SALU_CYCLE_1) | instskip(SKIP_4) | instid1(TRANS32_DEP_1)
	v_rcp_iflag_f32_e32 v2, s3
	s_ashr_i32 s5, s4, 31
	v_writelane_b32 v125, s4, 0
	v_cmp_gt_i64_e32 vcc_lo, s[4:5], v[0:1]
	v_writelane_b32 v125, s5, 1
	v_readfirstlane_b32 s3, v2
	s_and_saveexec_b32 s4, vcc_lo
	s_cbranch_execz .LBB25_62
; %bb.1:
	s_clause 0x1
	s_load_b128 s[56:59], s[0:1], 0xc
	s_load_b64 s[6:7], s[0:1], 0x0
	s_mul_f32 s3, s3, 0x4f7ffffe
	s_sub_co_i32 s8, 0, s78
	s_load_b32 s11, s[0:1], 0x7c
	s_mov_b32 s69, 0
	s_cvt_u32_f32 s3, s3
	s_mov_b32 s5, s69
	s_ashr_i32 s71, s45, 31
	s_wait_alu 0xfffe
	s_mul_i32 s4, s8, s3
	s_wait_alu 0xfffe
	s_mul_hi_u32 s4, s3, s4
	s_wait_alu 0xfffe
	s_add_co_i32 s4, s3, s4
	s_wait_kmcnt 0x0
	s_abs_i32 s68, s56
	v_writelane_b32 v125, s6, 2
	s_wait_alu 0xfffe
	s_mul_u64 s[4:5], s[68:69], s[4:5]
	s_ashr_i32 s4, s56, 31
	s_wait_alu 0xfffe
	s_xor_b32 s4, s4, s71
	v_writelane_b32 v125, s7, 3
	s_add_nc_u64 s[6:7], s[0:1], 0xb8
	s_clause 0x1
	s_load_b256 s[48:55], s[0:1], 0x90
	s_load_b32 s10, s[0:1], 0xb0
	s_load_b32 s3, s[6:7], 0x0
	s_mul_i32 s6, s5, s78
	s_add_co_i32 s7, s5, 1
	s_wait_alu 0xfffe
	s_sub_co_i32 s6, s68, s6
	v_writelane_b32 v125, s11, 4
	s_wait_alu 0xfffe
	s_sub_co_i32 s9, s6, s78
	s_cmp_ge_u32 s6, s78
	s_clause 0x1
	s_load_b64 s[72:73], s[0:1], 0x1c
	s_load_b64 s[74:75], s[0:1], 0x30
	s_cselect_b32 s5, s7, s5
	s_cselect_b32 s6, s9, s6
	s_wait_alu 0xfffe
	s_add_co_i32 s7, s5, 1
	s_cmp_ge_u32 s6, s78
	s_clause 0x1
	s_load_b64 s[76:77], s[0:1], 0x60
	s_load_b128 s[60:63], s[0:1], 0x50
	s_cselect_b32 s5, s7, s5
	v_readfirstlane_b32 s6, v2
	s_wait_alu 0xfffe
	s_xor_b32 s5, s5, s4
	s_wait_alu 0xfffe
	s_sub_co_i32 s68, s5, s4
	s_delay_alu instid0(SALU_CYCLE_1)
	s_cmp_gt_i32 s68, 0
	s_wait_kmcnt 0x0
	s_mul_i32 s1, s3, s2
	s_mul_f32 s0, s6, 0x4f7ffffe
	s_wait_alu 0xfffe
	v_writelane_b32 v125, s1, 5
	s_cselect_b32 s1, -1, 0
	s_abs_i32 s86, s64
	s_abs_i32 s87, s47
	;; [unrolled: 1-line block ×3, first 2 shown]
	s_wait_alu 0xfffe
	v_writelane_b32 v125, s1, 6
	s_lshl_b32 s1, s10, 1
	s_cvt_f32_u32 s2, s87
	s_cvt_f32_u32 s3, s88
	s_ashr_i32 s4, s64, 31
	v_writelane_b32 v125, s10, 7
	s_wait_alu 0xfffe
	v_rcp_iflag_f32_e32 v3, s2
	v_rcp_iflag_f32_e32 v4, s3
	s_abs_i32 s92, s48
	s_sub_co_i32 s2, 0, s87
	v_writelane_b32 v125, s1, 8
	s_lshl_b32 s1, s55, 1
	s_cvt_f32_u32 s7, s92
	s_abs_i32 s93, s49
	s_abs_i32 s94, s50
	s_wait_alu 0xfffe
	v_writelane_b32 v125, s1, 9
	s_lshl_b32 s1, s54, 1
	v_readfirstlane_b32 s5, v4
	s_sub_co_i32 s6, 0, s88
	s_cvt_u32_f32 s0, s0
	s_wait_alu 0xfffe
	v_writelane_b32 v125, s1, 10
	s_cvt_f32_u32 s1, s86
	s_mul_f32 s5, s5, 0x4f7ffffe
	s_mul_i32 s8, s8, s0
	s_ashr_i32 s99, s48, 31
	s_wait_alu 0xfffe
	v_rcp_iflag_f32_e32 v2, s1
	v_writelane_b32 v125, s4, 11
	s_ashr_i32 s1, s47, 31
	v_readfirstlane_b32 s4, v3
	s_cvt_u32_f32 s5, s5
	s_ashr_i32 s101, s49, 31
	s_wait_alu 0xfffe
	v_writelane_b32 v125, s1, 12
	s_ashr_i32 s1, s46, 31
	s_mul_f32 s4, s4, 0x4f7ffffe
	s_mul_i32 s6, s6, s5
	v_readfirstlane_b32 s3, v2
	s_wait_alu 0xfffe
	v_writelane_b32 v125, s1, 13
	s_sub_co_i32 s1, 0, s86
	v_rcp_iflag_f32_e32 v2, s7
	s_cvt_u32_f32 s4, s4
	s_mul_f32 s3, s3, 0x4f7ffffe
	s_cvt_f32_u32 s7, s93
	s_ashr_i32 s103, s50, 31
	s_wait_alu 0xfffe
	s_mul_i32 s2, s2, s4
	s_cvt_u32_f32 s3, s3
	s_wait_alu 0xfffe
	s_mul_hi_u32 s2, s4, s2
	s_delay_alu instid0(SALU_CYCLE_1)
	s_mul_i32 s1, s1, s3
	s_wait_alu 0xfffe
	s_mul_hi_u32 s1, s3, s1
	s_wait_alu 0xfffe
	s_add_co_i32 s1, s3, s1
	s_mul_hi_u32 s3, s5, s6
	s_wait_alu 0xfffe
	v_writelane_b32 v125, s1, 14
	s_add_co_i32 s1, s4, s2
	s_cvt_f32_u32 s2, s94
	s_wait_alu 0xfffe
	v_writelane_b32 v125, s1, 15
	v_readfirstlane_b32 s1, v2
	v_rcp_iflag_f32_e32 v2, s7
	v_rcp_iflag_f32_e32 v3, s2
	s_add_co_i32 s2, s5, s3
	s_sub_co_i32 s3, 0, s92
	s_mul_f32 s1, s1, 0x4f7ffffe
	s_wait_alu 0xfffe
	v_writelane_b32 v125, s2, 16
	s_mul_hi_u32 s2, s0, s8
	s_cvt_u32_f32 s1, s1
	s_wait_alu 0xfffe
	s_add_co_i32 s0, s0, s2
	v_readfirstlane_b32 s4, v2
	s_wait_alu 0xfffe
	v_writelane_b32 v125, s0, 17
	v_readfirstlane_b32 s0, v3
	s_mul_i32 s3, s3, s1
	s_wait_alu 0xfffe
	s_mul_hi_u32 s2, s1, s3
	s_mul_f32 s3, s4, 0x4f7ffffe
	s_mul_f32 s0, s0, 0x4f7ffffe
	s_wait_alu 0xfffe
	s_add_co_i32 s100, s1, s2
	s_sub_co_i32 s2, 0, s93
	s_cvt_u32_f32 s1, s3
	s_cvt_u32_f32 s0, s0
	s_sub_co_i32 s3, 0, s94
	s_wait_alu 0xfffe
	s_mul_i32 s2, s2, s1
	s_mul_i32 s3, s3, s0
	s_wait_alu 0xfffe
	s_mul_hi_u32 s2, s1, s2
	s_wait_alu 0xfffe
	s_add_co_i32 s102, s1, s2
	s_mul_hi_u32 s1, s0, s3
	s_wait_alu 0xfffe
	s_add_co_i32 s104, s0, s1
	s_branch .LBB25_4
.LBB25_2:                               ;   in Loop: Header=BB25_4 Depth=1
	s_or_b32 exec_lo, exec_lo, s39
	s_delay_alu instid0(VALU_DEP_1)
	v_cvt_f16_f32_e32 v2, v69
.LBB25_3:                               ;   in Loop: Header=BB25_4 Depth=1
	v_mul_lo_u32 v3, v63, s65
	v_mul_lo_u32 v5, s60, v64
	;; [unrolled: 1-line block ×3, first 2 shown]
	v_readlane_b32 s0, v125, 5
	v_mul_lo_u32 v9, s62, v61
	v_mul_lo_u32 v11, s63, v60
	s_wait_alu 0xf1ff
	s_delay_alu instid0(VALU_DEP_3)
	v_add_co_u32 v0, vcc_lo, v0, s0
	v_ashrrev_i32_e32 v4, 31, v3
	v_ashrrev_i32_e32 v6, 31, v5
	;; [unrolled: 1-line block ×3, first 2 shown]
	s_wait_alu 0xfffd
	v_add_co_ci_u32_e64 v1, null, 0, v1, vcc_lo
	v_lshlrev_b64_e32 v[3:4], 1, v[3:4]
	v_lshlrev_b64_e32 v[5:6], 1, v[5:6]
	v_ashrrev_i32_e32 v10, 31, v9
	v_ashrrev_i32_e32 v12, 31, v11
	v_readlane_b32 s0, v125, 0
	v_readlane_b32 s1, v125, 1
	v_add_co_u32 v13, vcc_lo, s74, v3
	s_wait_alu 0xfffd
	v_add_co_ci_u32_e64 v14, null, s75, v4, vcc_lo
	v_lshlrev_b64_e32 v[3:4], 1, v[7:8]
	s_delay_alu instid0(VALU_DEP_3) | instskip(SKIP_1) | instid1(VALU_DEP_3)
	v_add_co_u32 v7, vcc_lo, v13, v5
	s_wait_alu 0xfffd
	v_add_co_ci_u32_e64 v8, null, v14, v6, vcc_lo
	v_lshlrev_b64_e32 v[5:6], 1, v[9:10]
	s_delay_alu instid0(VALU_DEP_3) | instskip(SKIP_1) | instid1(VALU_DEP_3)
	;; [unrolled: 5-line block ×3, first 2 shown]
	v_add_co_u32 v5, vcc_lo, v7, v5
	s_wait_alu 0xfffd
	v_add_co_ci_u32_e64 v6, null, v8, v6, vcc_lo
	s_wait_alu 0xf1ff
	v_cmp_le_i64_e32 vcc_lo, s[0:1], v[0:1]
	v_add_co_u32 v3, s0, v5, v3
	s_wait_alu 0xf1ff
	v_add_co_ci_u32_e64 v4, null, v6, v4, s0
	s_or_b32 s69, vcc_lo, s69
	global_store_b16 v[3:4], v2, off
	s_wait_alu 0xfffe
	s_and_not1_b32 exec_lo, exec_lo, s69
	s_cbranch_execz .LBB25_62
.LBB25_4:                               ; =>This Loop Header: Depth=1
                                        ;     Child Loop BB25_7 Depth 2
	v_sub_nc_u32_e32 v2, 0, v0
	v_readlane_b32 s0, v125, 14
	s_delay_alu instid0(VALU_DEP_2) | instskip(SKIP_1) | instid1(VALU_DEP_1)
	v_max_i32_e32 v2, v0, v2
	s_wait_alu 0xf1ff
	v_mul_hi_u32 v3, v2, s0
	v_readlane_b32 s0, v125, 11
	s_delay_alu instid0(VALU_DEP_2) | instskip(NEXT) | instid1(VALU_DEP_1)
	v_mul_lo_u32 v4, v3, s86
	v_sub_nc_u32_e32 v2, v2, v4
	v_add_nc_u32_e32 v4, 1, v3
	s_delay_alu instid0(VALU_DEP_2) | instskip(SKIP_2) | instid1(VALU_DEP_2)
	v_subrev_nc_u32_e32 v5, s86, v2
	v_cmp_le_u32_e32 vcc_lo, s86, v2
	s_wait_alu 0xfffd
	v_dual_cndmask_b32 v3, v3, v4 :: v_dual_cndmask_b32 v2, v2, v5
	v_ashrrev_i32_e32 v4, 31, v0
	s_delay_alu instid0(VALU_DEP_2) | instskip(NEXT) | instid1(VALU_DEP_3)
	v_add_nc_u32_e32 v5, 1, v3
	v_cmp_le_u32_e32 vcc_lo, s86, v2
	s_wait_alu 0xf1ff
	s_delay_alu instid0(VALU_DEP_3) | instskip(SKIP_3) | instid1(VALU_DEP_1)
	v_xor_b32_e32 v4, s0, v4
	v_readlane_b32 s0, v125, 15
	s_wait_alu 0xfffd
	v_cndmask_b32_e32 v2, v3, v5, vcc_lo
	v_xor_b32_e32 v2, v2, v4
	s_delay_alu instid0(VALU_DEP_1) | instskip(NEXT) | instid1(VALU_DEP_1)
	v_sub_nc_u32_e32 v2, v2, v4
	v_sub_nc_u32_e32 v3, 0, v2
	s_delay_alu instid0(VALU_DEP_1) | instskip(SKIP_1) | instid1(VALU_DEP_1)
	v_max_i32_e32 v3, v2, v3
	s_wait_alu 0xf1ff
	v_mul_hi_u32 v4, v3, s0
	v_readlane_b32 s0, v125, 12
	s_delay_alu instid0(VALU_DEP_2) | instskip(NEXT) | instid1(VALU_DEP_1)
	v_mul_lo_u32 v5, v4, s87
	v_sub_nc_u32_e32 v3, v3, v5
	v_add_nc_u32_e32 v5, 1, v4
	s_delay_alu instid0(VALU_DEP_2) | instskip(SKIP_2) | instid1(VALU_DEP_2)
	v_subrev_nc_u32_e32 v6, s87, v3
	v_cmp_le_u32_e32 vcc_lo, s87, v3
	s_wait_alu 0xfffd
	v_dual_cndmask_b32 v4, v4, v5 :: v_dual_cndmask_b32 v3, v3, v6
	v_ashrrev_i32_e32 v5, 31, v2
	s_delay_alu instid0(VALU_DEP_2) | instskip(NEXT) | instid1(VALU_DEP_3)
	v_add_nc_u32_e32 v6, 1, v4
	v_cmp_le_u32_e32 vcc_lo, s87, v3
	s_wait_alu 0xf1ff
	s_delay_alu instid0(VALU_DEP_3) | instskip(SKIP_3) | instid1(VALU_DEP_1)
	v_xor_b32_e32 v5, s0, v5
	v_readlane_b32 s0, v125, 16
	s_wait_alu 0xfffd
	v_cndmask_b32_e32 v3, v4, v6, vcc_lo
	v_xor_b32_e32 v3, v3, v5
	s_delay_alu instid0(VALU_DEP_1) | instskip(NEXT) | instid1(VALU_DEP_1)
	v_sub_nc_u32_e32 v3, v3, v5
	v_sub_nc_u32_e32 v4, 0, v3
	s_delay_alu instid0(VALU_DEP_1) | instskip(SKIP_1) | instid1(VALU_DEP_1)
	;; [unrolled: 28-line block ×3, first 2 shown]
	v_max_i32_e32 v5, v4, v5
	s_wait_alu 0xf1ff
	v_mul_hi_u32 v6, v5, s0
	v_readlane_b32 s0, v125, 6
	s_delay_alu instid0(VALU_DEP_2) | instskip(NEXT) | instid1(VALU_DEP_1)
	v_mul_lo_u32 v7, v6, s78
	v_sub_nc_u32_e32 v5, v5, v7
	v_add_nc_u32_e32 v7, 1, v6
	s_delay_alu instid0(VALU_DEP_2) | instskip(SKIP_2) | instid1(VALU_DEP_2)
	v_subrev_nc_u32_e32 v8, s78, v5
	v_cmp_le_u32_e32 vcc_lo, s78, v5
	s_wait_alu 0xfffd
	v_dual_cndmask_b32 v6, v6, v7 :: v_dual_cndmask_b32 v5, v5, v8
	v_ashrrev_i32_e32 v7, 31, v4
	s_delay_alu instid0(VALU_DEP_2) | instskip(NEXT) | instid1(VALU_DEP_3)
	v_add_nc_u32_e32 v8, 1, v6
	v_cmp_le_u32_e32 vcc_lo, s78, v5
	s_delay_alu instid0(VALU_DEP_3) | instskip(SKIP_1) | instid1(VALU_DEP_3)
	v_xor_b32_e32 v7, s71, v7
	s_wait_alu 0xfffd
	v_cndmask_b32_e32 v5, v6, v8, vcc_lo
	v_mul_lo_u32 v6, v3, s47
	s_and_not1_b32 vcc_lo, exec_lo, s0
	s_delay_alu instid0(VALU_DEP_2) | instskip(NEXT) | instid1(VALU_DEP_2)
	v_xor_b32_e32 v5, v5, v7
	v_sub_nc_u32_e32 v61, v2, v6
	s_delay_alu instid0(VALU_DEP_2) | instskip(SKIP_2) | instid1(VALU_DEP_3)
	v_sub_nc_u32_e32 v63, v5, v7
	v_mul_lo_u32 v5, v2, s64
	v_mul_lo_u32 v7, v4, s46
	;; [unrolled: 1-line block ×3, first 2 shown]
	s_delay_alu instid0(VALU_DEP_3) | instskip(NEXT) | instid1(VALU_DEP_3)
	v_sub_nc_u32_e32 v60, v0, v5
	v_sub_nc_u32_e32 v62, v3, v7
	s_delay_alu instid0(VALU_DEP_3)
	v_sub_nc_u32_e32 v64, v4, v8
	s_wait_alu 0xfffe
	s_cbranch_vccnz .LBB25_61
; %bb.5:                                ;   in Loop: Header=BB25_4 Depth=1
	v_add_nc_u32_e32 v5, s53, v60
	s_delay_alu instid0(VALU_DEP_2)
	v_mul_lo_u32 v65, v64, s68
	v_readlane_b32 s0, v125, 4
	v_readlane_b32 s1, v125, 9
	;; [unrolled: 1-line block ×3, first 2 shown]
	v_sub_nc_u32_e32 v2, 0, v5
	v_add_nc_u32_e32 v10, s52, v61
	s_delay_alu instid0(VALU_DEP_2) | instskip(NEXT) | instid1(VALU_DEP_1)
	v_max_i32_e32 v2, v5, v2
	v_mul_hi_u32 v3, v2, s104
	s_delay_alu instid0(VALU_DEP_1) | instskip(NEXT) | instid1(VALU_DEP_1)
	v_mul_lo_u32 v4, v3, s94
	v_sub_nc_u32_e32 v2, v2, v4
	v_add_nc_u32_e32 v4, 1, v3
	s_delay_alu instid0(VALU_DEP_2) | instskip(SKIP_2) | instid1(VALU_DEP_2)
	v_subrev_nc_u32_e32 v6, s94, v2
	v_cmp_le_u32_e32 vcc_lo, s94, v2
	s_wait_alu 0xfffd
	v_dual_cndmask_b32 v6, v2, v6 :: v_dual_cndmask_b32 v3, v3, v4
	v_ashrrev_i32_e32 v4, 31, v5
	s_wait_alu 0xf1ff
	v_mul_lo_u32 v2, s0, v65
	v_readlane_b32 s0, v125, 7
	v_cmp_le_u32_e32 vcc_lo, s94, v6
	v_add_nc_u32_e32 v7, 1, v3
	v_xor_b32_e32 v4, s103, v4
	s_wait_alu 0xfffd
	s_delay_alu instid0(VALU_DEP_2) | instskip(SKIP_3) | instid1(VALU_DEP_3)
	v_cndmask_b32_e32 v3, v3, v7, vcc_lo
	s_wait_alu 0xf1ff
	v_subrev_nc_u32_e32 v7, s0, v5
	v_readlane_b32 s0, v125, 8
	v_xor_b32_e32 v6, v3, v4
	s_delay_alu instid0(VALU_DEP_3) | instskip(SKIP_1) | instid1(VALU_DEP_3)
	v_sub_nc_u32_e32 v9, 0, v7
	s_wait_alu 0xf1ff
	v_subrev_nc_u32_e32 v8, s0, v5
	v_ashrrev_i32_e32 v3, 31, v2
	v_sub_nc_u32_e32 v4, v6, v4
	v_max_i32_e32 v6, v7, v9
	s_delay_alu instid0(VALU_DEP_4) | instskip(NEXT) | instid1(VALU_DEP_4)
	v_sub_nc_u32_e32 v11, 0, v8
	v_lshlrev_b64_e32 v[2:3], 1, v[2:3]
	v_subrev_nc_u32_e32 v9, s55, v10
	v_mul_lo_u32 v12, v4, s50
	v_mul_hi_u32 v13, v6, s104
	v_max_i32_e32 v11, v8, v11
	v_cmp_gt_i32_e64 s42, s59, v4
	v_add_co_u32 v2, vcc_lo, s76, v2
	v_sub_nc_u32_e32 v14, 0, v9
	s_wait_alu 0xfffd
	v_add_co_ci_u32_e64 v3, null, s77, v3, vcc_lo
	v_mul_hi_u32 v15, v11, s104
	v_cmp_eq_u32_e32 vcc_lo, v12, v5
	v_mul_lo_u32 v5, v13, s94
	v_max_i32_e32 v12, v9, v14
	s_delay_alu instid0(VALU_DEP_4) | instskip(NEXT) | instid1(VALU_DEP_3)
	v_mul_lo_u32 v14, v15, s94
	v_sub_nc_u32_e32 v5, v6, v5
	s_delay_alu instid0(VALU_DEP_3) | instskip(NEXT) | instid1(VALU_DEP_2)
	v_mul_hi_u32 v6, v12, s102
	v_cmp_le_u32_e64 s0, s94, v5
	s_delay_alu instid0(VALU_DEP_4) | instskip(NEXT) | instid1(VALU_DEP_3)
	v_sub_nc_u32_e32 v11, v11, v14
	v_mul_lo_u32 v14, v6, s93
	s_delay_alu instid0(VALU_DEP_1) | instskip(SKIP_2) | instid1(VALU_DEP_1)
	v_sub_nc_u32_e32 v12, v12, v14
	v_add_nc_u32_e32 v14, 1, v13
	s_wait_alu 0xf1ff
	v_cndmask_b32_e64 v13, v13, v14, s0
	v_subrev_nc_u32_e32 v14, s94, v5
	s_delay_alu instid0(VALU_DEP_1) | instskip(SKIP_3) | instid1(VALU_DEP_1)
	v_cndmask_b32_e64 v5, v5, v14, s0
	v_subrev_nc_u32_e32 v14, s94, v11
	v_cmp_le_u32_e64 s0, s94, v11
	s_wait_alu 0xf1ff
	v_cndmask_b32_e64 v11, v11, v14, s0
	v_add_nc_u32_e32 v14, 1, v15
	s_delay_alu instid0(VALU_DEP_1) | instskip(SKIP_3) | instid1(VALU_DEP_1)
	v_cndmask_b32_e64 v14, v15, v14, s0
	v_subrev_nc_u32_e32 v15, s93, v12
	v_cmp_le_u32_e64 s0, s93, v12
	s_wait_alu 0xf1ff
	v_cndmask_b32_e64 v12, v12, v15, s0
	v_add_nc_u32_e32 v15, 1, v6
	s_delay_alu instid0(VALU_DEP_1) | instskip(SKIP_4) | instid1(VALU_DEP_2)
	v_cndmask_b32_e64 v15, v6, v15, s0
	v_add_nc_u32_e32 v6, 1, v13
	v_cmp_le_u32_e64 s0, s94, v5
	v_sub_nc_u32_e32 v5, 0, v10
	s_wait_alu 0xf1ff
	v_cndmask_b32_e64 v6, v13, v6, s0
	v_cmp_le_u32_e64 s0, s94, v11
	v_ashrrev_i32_e32 v11, 31, v7
	v_add_nc_u32_e32 v13, 1, v14
	v_max_i32_e32 v16, v10, v5
	s_delay_alu instid0(VALU_DEP_3) | instskip(SKIP_1) | instid1(VALU_DEP_3)
	v_xor_b32_e32 v5, s103, v11
	s_wait_alu 0xf1ff
	v_cndmask_b32_e64 v11, v14, v13, s0
	s_delay_alu instid0(VALU_DEP_3) | instskip(SKIP_2) | instid1(VALU_DEP_1)
	v_mul_hi_u32 v13, v16, s102
	v_cmp_le_u32_e64 s0, s93, v12
	v_xor_b32_e32 v6, v6, v5
	v_sub_nc_u32_e32 v5, v6, v5
	s_delay_alu instid0(VALU_DEP_4) | instskip(NEXT) | instid1(VALU_DEP_2)
	v_mul_lo_u32 v6, v13, s93
	v_cmp_gt_i32_e64 s43, s59, v5
	s_delay_alu instid0(VALU_DEP_2) | instskip(SKIP_1) | instid1(VALU_DEP_2)
	v_sub_nc_u32_e32 v14, v16, v6
	v_ashrrev_i32_e32 v6, 31, v8
	v_subrev_nc_u32_e32 v12, s93, v14
	s_delay_alu instid0(VALU_DEP_2) | instskip(NEXT) | instid1(VALU_DEP_1)
	v_xor_b32_e32 v6, s103, v6
	v_xor_b32_e32 v11, v11, v6
	s_delay_alu instid0(VALU_DEP_1) | instskip(SKIP_1) | instid1(VALU_DEP_2)
	v_sub_nc_u32_e32 v6, v11, v6
	v_add_nc_u32_e32 v11, 1, v15
	v_cmp_gt_i32_e64 s44, s59, v6
	s_wait_alu 0xf1ff
	s_delay_alu instid0(VALU_DEP_2) | instskip(SKIP_3) | instid1(VALU_DEP_1)
	v_cndmask_b32_e64 v11, v15, v11, s0
	v_add_nc_u32_e32 v15, 1, v13
	v_cmp_le_u32_e64 s0, s93, v14
	s_wait_alu 0xf1ff
	v_cndmask_b32_e64 v12, v14, v12, s0
	v_ashrrev_i32_e32 v14, 31, v9
	v_cndmask_b32_e64 v13, v13, v15, s0
	v_mul_lo_u32 v15, v5, s50
	s_delay_alu instid0(VALU_DEP_3) | instskip(NEXT) | instid1(VALU_DEP_3)
	v_xor_b32_e32 v14, s101, v14
	v_add_nc_u32_e32 v16, 1, v13
	s_delay_alu instid0(VALU_DEP_3) | instskip(SKIP_1) | instid1(VALU_DEP_4)
	v_cmp_eq_u32_e64 s0, v15, v7
	v_subrev_nc_u32_e32 v15, s1, v10
	v_xor_b32_e32 v11, v11, v14
	v_cmp_le_u32_e64 s1, s93, v12
	s_delay_alu instid0(VALU_DEP_3) | instskip(NEXT) | instid1(VALU_DEP_3)
	v_sub_nc_u32_e32 v12, 0, v15
	v_sub_nc_u32_e32 v7, v11, v14
	v_mul_lo_u32 v11, v6, s50
	v_ashrrev_i32_e32 v14, 31, v10
	s_wait_alu 0xf1ff
	v_cndmask_b32_e64 v13, v13, v16, s1
	v_max_i32_e32 v12, v15, v12
	v_cmp_gt_i32_e64 s37, s58, v7
	v_xor_b32_e32 v14, s101, v14
	v_cmp_eq_u32_e64 s1, v11, v8
	s_delay_alu instid0(VALU_DEP_4)
	v_mul_hi_u32 v11, v12, s102
	s_and_b32 s95, s42, s37
	v_xor_b32_e32 v8, v13, v14
	v_mul_lo_u32 v13, v7, s49
	s_and_b32 s96, s43, s37
	s_and_b32 s97, s44, s37
	s_delay_alu instid0(VALU_DEP_2) | instskip(NEXT) | instid1(VALU_DEP_4)
	v_sub_nc_u32_e32 v8, v8, v14
	v_mul_lo_u32 v14, v11, s93
	s_delay_alu instid0(VALU_DEP_3) | instskip(NEXT) | instid1(VALU_DEP_3)
	v_cmp_eq_u32_e64 s2, v13, v9
	v_mul_lo_u32 v9, v8, s49
	v_add_nc_u32_e32 v13, s51, v62
	v_cmp_gt_i32_e64 s38, s58, v8
	v_sub_nc_u32_e32 v12, v12, v14
	v_add_nc_u32_e32 v14, 1, v11
	s_and_b32 s89, s42, s38
	v_cmp_eq_u32_e64 s13, v9, v10
	s_delay_alu instid0(VALU_DEP_3)
	v_subrev_nc_u32_e32 v9, s93, v12
	v_subrev_nc_u32_e32 v10, s54, v13
	v_cmp_le_u32_e64 s3, s93, v12
	s_and_b32 s90, s43, s38
	s_and_b32 s91, s44, s38
	v_cndmask_b32_e64 v9, v12, v9, s3
	v_sub_nc_u32_e32 v12, 0, v10
	v_cndmask_b32_e64 v11, v11, v14, s3
	s_delay_alu instid0(VALU_DEP_3) | instskip(NEXT) | instid1(VALU_DEP_3)
	v_cmp_le_u32_e64 s3, s93, v9
	v_max_i32_e32 v12, v10, v12
	s_delay_alu instid0(VALU_DEP_3) | instskip(NEXT) | instid1(VALU_DEP_2)
	v_add_nc_u32_e32 v14, 1, v11
	v_mul_hi_u32 v16, v12, s100
	s_wait_alu 0xf1ff
	s_delay_alu instid0(VALU_DEP_2) | instskip(NEXT) | instid1(VALU_DEP_2)
	v_cndmask_b32_e64 v9, v11, v14, s3
	v_mul_lo_u32 v11, v16, s92
	s_delay_alu instid0(VALU_DEP_1) | instskip(SKIP_1) | instid1(VALU_DEP_2)
	v_sub_nc_u32_e32 v11, v12, v11
	v_ashrrev_i32_e32 v12, 31, v15
	v_cmp_le_u32_e64 s3, s92, v11
	s_delay_alu instid0(VALU_DEP_2) | instskip(NEXT) | instid1(VALU_DEP_1)
	v_xor_b32_e32 v12, s101, v12
	v_xor_b32_e32 v9, v9, v12
	s_delay_alu instid0(VALU_DEP_1) | instskip(SKIP_1) | instid1(VALU_DEP_2)
	v_sub_nc_u32_e32 v9, v9, v12
	v_subrev_nc_u32_e32 v12, s92, v11
	v_mul_lo_u32 v14, v9, s49
	s_wait_alu 0xf1ff
	s_delay_alu instid0(VALU_DEP_2) | instskip(SKIP_2) | instid1(VALU_DEP_2)
	v_cndmask_b32_e64 v11, v11, v12, s3
	v_add_nc_u32_e32 v12, 1, v16
	v_cmp_gt_i32_e64 s36, s58, v9
	v_cndmask_b32_e64 v12, v16, v12, s3
	v_cmp_eq_u32_e64 s10, v14, v15
	v_sub_nc_u32_e32 v15, 0, v13
	v_cmp_le_u32_e64 s3, s92, v11
	v_ashrrev_i32_e32 v11, 31, v10
	v_add_nc_u32_e32 v14, 1, v12
	s_and_b32 s98, s42, s36
	v_max_i32_e32 v15, v13, v15
	s_and_b32 s66, s43, s36
	v_xor_b32_e32 v11, s99, v11
	s_wait_alu 0xf1ff
	v_cndmask_b32_e64 v12, v12, v14, s3
	s_and_b32 s67, s44, s36
	v_mul_hi_u32 v14, v15, s100
	s_delay_alu instid0(VALU_DEP_2) | instskip(NEXT) | instid1(VALU_DEP_1)
	v_xor_b32_e32 v12, v12, v11
	v_sub_nc_u32_e32 v12, v12, v11
	s_delay_alu instid0(VALU_DEP_3) | instskip(NEXT) | instid1(VALU_DEP_2)
	v_mul_lo_u32 v11, v14, s92
	v_cmp_gt_i32_e64 s33, s57, v12
	s_delay_alu instid0(VALU_DEP_2) | instskip(SKIP_1) | instid1(VALU_DEP_2)
	v_sub_nc_u32_e32 v11, v15, v11
	v_mul_lo_u32 v15, v12, s48
	v_cmp_le_u32_e64 s3, s92, v11
	s_delay_alu instid0(VALU_DEP_2)
	v_cmp_eq_u32_e64 s20, v15, v10
	v_subrev_nc_u32_e32 v10, s92, v11
	v_subrev_nc_u32_e32 v15, s4, v13
	v_readlane_b32 s4, v125, 2
	v_readlane_b32 s5, v125, 3
	s_and_b32 s81, s20, s2
	v_cndmask_b32_e64 v10, v11, v10, s3
	v_add_nc_u32_e32 v11, 1, v14
	s_and_b32 s70, s20, s10
	s_delay_alu instid0(VALU_DEP_1) | instskip(SKIP_2) | instid1(VALU_DEP_2)
	v_cndmask_b32_e64 v11, v14, v11, s3
	v_sub_nc_u32_e32 v14, 0, v15
	v_cmp_le_u32_e64 s3, s92, v10
	v_max_i32_e32 v14, v15, v14
	s_delay_alu instid0(VALU_DEP_1) | instskip(NEXT) | instid1(VALU_DEP_1)
	v_mul_hi_u32 v16, v14, s100
	v_mul_lo_u32 v17, v16, s92
	s_delay_alu instid0(VALU_DEP_1) | instskip(SKIP_2) | instid1(VALU_DEP_1)
	v_sub_nc_u32_e32 v14, v14, v17
	v_add_nc_u32_e32 v17, 1, v11
	s_wait_alu 0xf1ff
	v_cndmask_b32_e64 v10, v11, v17, s3
	s_delay_alu instid0(VALU_DEP_3) | instskip(SKIP_2) | instid1(VALU_DEP_1)
	v_subrev_nc_u32_e32 v11, s92, v14
	v_cmp_le_u32_e64 s3, s92, v14
	s_wait_alu 0xf1ff
	v_cndmask_b32_e64 v11, v14, v11, s3
	v_add_nc_u32_e32 v14, 1, v16
	s_delay_alu instid0(VALU_DEP_1) | instskip(SKIP_1) | instid1(VALU_DEP_4)
	v_cndmask_b32_e64 v14, v16, v14, s3
	v_ashrrev_i32_e32 v16, 31, v13
	v_cmp_le_u32_e64 s3, s92, v11
	v_ashrrev_i32_e32 v11, 31, v15
	s_delay_alu instid0(VALU_DEP_3) | instskip(NEXT) | instid1(VALU_DEP_2)
	v_xor_b32_e32 v16, s99, v16
	v_xor_b32_e32 v11, s99, v11
	s_delay_alu instid0(VALU_DEP_2) | instskip(NEXT) | instid1(VALU_DEP_1)
	v_xor_b32_e32 v10, v10, v16
	v_sub_nc_u32_e32 v16, v10, v16
	v_add_nc_u32_e32 v10, 1, v14
	s_delay_alu instid0(VALU_DEP_2) | instskip(SKIP_1) | instid1(VALU_DEP_2)
	v_cmp_gt_i32_e64 s35, s57, v16
	s_wait_alu 0xf1ff
	v_cndmask_b32_e64 v10, v14, v10, s3
	s_delay_alu instid0(VALU_DEP_1) | instskip(NEXT) | instid1(VALU_DEP_1)
	v_xor_b32_e32 v10, v10, v11
	v_sub_nc_u32_e32 v14, v10, v11
	v_mul_lo_u32 v10, v16, s48
	s_delay_alu instid0(VALU_DEP_2) | instskip(NEXT) | instid1(VALU_DEP_2)
	v_cmp_gt_i32_e64 s28, s57, v14
	v_cmp_eq_u32_e64 s9, v10, v13
	v_mul_lo_u32 v10, v14, s48
	s_and_b32 s79, s9, s13
	s_delay_alu instid0(VALU_DEP_1) | instskip(SKIP_1) | instid1(VALU_DEP_1)
	v_cmp_eq_u32_e64 s27, v10, v15
	v_mul_lo_u32 v10, s72, v63
	v_ashrrev_i32_e32 v11, 31, v10
	s_delay_alu instid0(VALU_DEP_1) | instskip(NEXT) | instid1(VALU_DEP_1)
	v_lshlrev_b64_e32 v[10:11], 1, v[10:11]
	v_add_co_u32 v66, s3, s4, v10
	v_or_b32_e32 v10, v4, v8
	s_wait_alu 0xf1ff
	s_delay_alu instid0(VALU_DEP_3) | instskip(NEXT) | instid1(VALU_DEP_2)
	v_add_co_ci_u32_e64 v67, null, s5, v11, s3
	v_or_b32_e32 v11, v10, v16
	s_delay_alu instid0(VALU_DEP_1) | instskip(SKIP_3) | instid1(VALU_DEP_1)
	v_cmp_lt_i32_e64 s5, -1, v11
	v_or_b32_e32 v11, v5, v8
	s_wait_alu 0xfffe
	s_and_b32 s5, s89, s5
	v_or_b32_e32 v13, v11, v16
	s_wait_alu 0xfffe
	s_and_b32 vcc_hi, s5, s35
	s_delay_alu instid0(VALU_DEP_1) | instskip(SKIP_2) | instid1(VALU_DEP_1)
	v_cmp_lt_i32_e64 s3, -1, v13
	v_or_b32_e32 v13, v6, v8
	s_and_b32 s5, s90, s3
	v_or_b32_e32 v15, v13, v16
	s_wait_alu 0xfffe
	s_and_b32 s56, s5, s35
	s_and_b32 s3, s79, vcc_lo
	s_delay_alu instid0(VALU_DEP_1) | instskip(SKIP_2) | instid1(VALU_DEP_1)
	v_cmp_lt_i32_e64 s4, -1, v15
	v_or_b32_e32 v15, v4, v7
	s_and_b32 s5, s91, s4
	v_or_b32_e32 v17, v15, v16
	s_and_b32 s4, s79, s0
	s_wait_alu 0xfffe
	s_and_b32 s38, s5, s35
	s_and_b32 s5, s79, s1
	;; [unrolled: 1-line block ×3, first 2 shown]
	v_cmp_lt_i32_e64 s8, -1, v17
	v_or_b32_e32 v17, v5, v7
	s_and_b32 s8, s95, s8
	s_delay_alu instid0(VALU_DEP_1) | instskip(SKIP_2) | instid1(VALU_DEP_1)
	v_or_b32_e32 v18, v17, v16
	s_wait_alu 0xfffe
	s_and_b32 s83, s8, s35
	v_cmp_lt_i32_e64 s6, -1, v18
	v_or_b32_e32 v18, v6, v7
	s_and_b32 s8, s96, s6
	s_delay_alu instid0(VALU_DEP_1) | instskip(SKIP_3) | instid1(VALU_DEP_1)
	v_or_b32_e32 v19, v18, v16
	s_wait_alu 0xfffe
	s_and_b32 s84, s8, s35
	s_and_b32 s6, s79, vcc_lo
	v_cmp_lt_i32_e64 s7, -1, v19
	v_or_b32_e32 v19, v4, v9
	s_and_b32 s8, s97, s7
	s_delay_alu instid0(VALU_DEP_1)
	v_or_b32_e32 v20, v19, v16
	s_and_b32 s7, s79, s0
	s_wait_alu 0xfffe
	s_and_b32 s37, s8, s35
	s_and_b32 s8, s79, s1
	;; [unrolled: 1-line block ×3, first 2 shown]
	v_cmp_lt_i32_e64 s31, -1, v20
	v_or_b32_e32 v20, v5, v9
	s_wait_alu 0xfffe
	s_and_b32 s9, s79, vcc_lo
	s_and_b32 s10, s27, s10
	s_and_b32 s31, s98, s31
	v_or_b32_e32 v21, v20, v16
	s_and_b32 s31, s31, s35
	s_delay_alu instid0(VALU_DEP_1) | instskip(SKIP_2) | instid1(VALU_DEP_1)
	v_cmp_lt_i32_e64 s11, -1, v21
	v_or_b32_e32 v21, v6, v9
	s_and_b32 s11, s66, s11
	v_or_b32_e32 v22, v21, v16
	s_wait_alu 0xfffe
	s_and_b32 s42, s11, s35
	s_and_b32 s11, s79, s0
	s_delay_alu instid0(VALU_DEP_1) | instskip(SKIP_3) | instid1(VALU_DEP_2)
	v_cmp_lt_i32_e64 s12, -1, v22
	v_or_b32_e32 v22, v10, v12
	v_or_b32_e32 v10, v10, v14
	s_and_b32 s12, s67, s12
	v_cmp_lt_i32_e64 s16, -1, v22
	v_or_b32_e32 v22, v11, v12
	s_delay_alu instid0(VALU_DEP_3)
	v_cmp_lt_i32_e64 s23, -1, v10
	v_or_b32_e32 v10, v11, v14
	v_or_b32_e32 v11, v18, v14
	s_and_b32 s16, s89, s16
	v_cmp_lt_i32_e64 s14, -1, v22
	v_or_b32_e32 v22, v13, v12
	v_cmp_lt_i32_e64 s24, -1, v10
	v_or_b32_e32 v10, v13, v14
	v_or_b32_e32 v13, v19, v14
	v_cmp_lt_i32_e64 s34, -1, v11
	v_cmp_lt_i32_e64 s15, -1, v22
	v_or_b32_e32 v22, v15, v12
	v_cmp_lt_i32_e64 s26, -1, v10
	v_or_b32_e32 v10, v15, v14
	v_or_b32_e32 v15, v20, v14
	s_wait_alu 0xfffe
	s_and_b32 s36, s16, s33
	v_cmp_lt_i32_e64 s19, -1, v22
	v_or_b32_e32 v22, v17, v12
	v_cmp_lt_i32_e64 s29, -1, v10
	v_or_b32_e32 v10, v17, v14
	s_and_b32 s16, s90, s14
	s_and_b32 s19, s95, s19
	v_cmp_lt_i32_e64 s17, -1, v22
	v_or_b32_e32 v22, v18, v12
	v_cmp_lt_i32_e64 s30, -1, v10
	v_mul_lo_u32 v10, v16, s58
	v_or_b32_e32 v16, v21, v14
	v_mul_lo_u32 v14, v14, s58
	v_cmp_lt_i32_e64 s18, -1, v22
	v_or_b32_e32 v22, v19, v12
	s_wait_alu 0xfffe
	s_and_b32 s85, s19, s33
	s_and_b32 s19, s96, s17
	v_cmp_lt_i32_e64 s39, -1, v13
	v_add_nc_u32_e32 v17, v8, v10
	v_cmp_lt_i32_e64 s25, -1, v22
	v_or_b32_e32 v22, v20, v12
	v_add_nc_u32_e32 v18, v7, v10
	v_add_nc_u32_e32 v19, v9, v10
	;; [unrolled: 1-line block ×4, first 2 shown]
	v_cmp_lt_i32_e64 s22, -1, v22
	v_or_b32_e32 v22, v21, v12
	v_mul_lo_u32 v12, v12, s58
	v_add_nc_u32_e32 v53, v9, v14
	v_mul_lo_u32 v11, v17, s59
	v_mul_lo_u32 v17, v18, s59
	;; [unrolled: 1-line block ×6, first 2 shown]
	v_add_nc_u32_e32 v23, v8, v12
	v_add_nc_u32_e32 v29, v7, v12
	;; [unrolled: 1-line block ×3, first 2 shown]
	v_cmp_lt_i32_e64 s40, -1, v15
	v_add_nc_u32_e32 v7, v4, v11
	v_mul_lo_u32 v30, v23, s59
	v_mul_lo_u32 v36, v29, s59
	;; [unrolled: 1-line block ×3, first 2 shown]
	v_add_nc_u32_e32 v9, v5, v11
	v_add_nc_u32_e32 v11, v6, v11
	;; [unrolled: 1-line block ×7, first 2 shown]
	s_and_b32 s35, s12, s35
	v_add_nc_u32_e32 v23, v6, v24
	s_and_b32 s12, s79, s1
	s_and_b32 s79, s20, s13
	v_add_nc_u32_e32 v25, v4, v30
	s_and_b32 s43, s16, s33
	v_add_nc_u32_e32 v27, v5, v30
	;; [unrolled: 2-line block ×3, first 2 shown]
	v_add_nc_u32_e32 v31, v4, v36
	s_wait_alu 0xfffe
	s_and_b32 s80, s19, s33
	v_add_nc_u32_e32 v33, v5, v36
	s_and_b32 s19, s97, s18
	v_add_nc_u32_e32 v35, v6, v36
	;; [unrolled: 2-line block ×3, first 2 shown]
	v_add_nc_u32_e32 v39, v5, v42
	v_add_nc_u32_e32 v41, v6, v42
	s_and_b32 s23, s89, s23
	v_add_nc_u32_e32 v43, v4, v48
	v_add_nc_u32_e32 v45, v5, v48
	v_add_nc_u32_e32 v47, v6, v48
	v_add_nc_u32_e32 v49, v4, v54
	v_add_nc_u32_e32 v51, v5, v54
	v_add_nc_u32_e32 v53, v6, v54
	v_add_nc_u32_e32 v55, v4, v58
	v_add_nc_u32_e32 v57, v5, v58
	v_cmp_lt_i32_e64 s21, -1, v22
	s_and_b32 s14, s79, vcc_lo
	s_and_b32 s15, s79, s0
	s_and_b32 s44, s16, s33
	;; [unrolled: 1-line block ×3, first 2 shown]
	s_and_b32 s17, s81, vcc_lo
	s_and_b32 s18, s81, s0
	s_wait_alu 0xfffe
	s_and_b32 s79, s19, s33
	s_and_b32 s19, s81, s1
	s_and_b32 s81, s25, s33
	s_and_b32 s25, s27, s13
	s_and_b32 s89, s23, s28
	s_and_b32 s23, s90, s24
	s_and_b32 s24, s91, s26
	v_add_nc_u32_e32 v68, v6, v58
	s_and_b32 s22, s66, s22
	s_wait_alu 0xfffe
	s_and_b32 s13, s25, vcc_lo
	s_and_b32 s90, s23, s28
	s_and_b32 s23, s25, s0
	;; [unrolled: 1-line block ×5, first 2 shown]
	v_cmp_lt_i32_e64 s41, -1, v16
	v_ashrrev_i32_e32 v8, 31, v7
	v_ashrrev_i32_e32 v10, 31, v9
	;; [unrolled: 1-line block ×26, first 2 shown]
	s_and_b32 s82, s22, s33
	s_and_b32 s22, s67, s21
	;; [unrolled: 1-line block ×3, first 2 shown]
	s_wait_alu 0xfffe
	s_and_b32 s29, s25, s28
	s_and_b32 s25, s96, s30
	v_ashrrev_i32_e32 v69, 31, v68
	s_and_b32 s20, s70, vcc_lo
	s_and_b32 s21, s70, s0
	s_and_b32 s33, s22, s33
	s_and_b32 s22, s70, s1
	s_and_b32 s2, s26, vcc_lo
	s_wait_alu 0xfffe
	s_and_b32 s30, s25, s28
	s_and_b32 s25, s26, s0
	;; [unrolled: 1-line block ×3, first 2 shown]
	s_and_b32 vcc_lo, s10, vcc_lo
	s_and_b32 s0, s10, s0
	s_and_b32 s1, s10, s1
	s_mul_i32 s10, s73, s68
	v_lshlrev_b64_e32 v[4:5], 1, v[7:8]
	v_lshlrev_b64_e32 v[6:7], 1, v[9:10]
	;; [unrolled: 1-line block ×26, first 2 shown]
	s_wait_alu 0xfffe
	v_mul_lo_u32 v58, s10, v64
	s_and_b32 s27, s66, s40
	v_lshlrev_b64_e32 v[56:57], 1, v[68:69]
	v_dual_mov_b32 v69, 0 :: v_dual_add_nc_u32 v68, s68, v65
	s_and_b32 s34, s97, s34
	s_and_b32 s70, s98, s39
	s_wait_alu 0xfffe
	s_and_b32 s40, s27, s28
	s_and_b32 s27, s67, s41
	;; [unrolled: 1-line block ×3, first 2 shown]
	s_mov_b32 s39, 0
	s_and_b32 s95, s70, s28
	s_wait_alu 0xfffe
	s_and_b32 s28, s27, s28
	s_branch .LBB25_7
.LBB25_6:                               ;   in Loop: Header=BB25_7 Depth=2
	s_wait_alu 0xfffe
	s_or_b32 exec_lo, exec_lo, s27
	s_wait_loadcnt 0x1a
	v_fma_mix_f32 v59, v59, v70, v69 op_sel_hi:[0,1,0]
	v_add_nc_u32_e32 v65, 1, v65
	v_add_co_u32 v2, s27, v2, 54
	s_wait_alu 0xf1ff
	v_add_co_ci_u32_e64 v3, null, 0, v3, s27
	v_cndmask_b32_e64 v59, v69, v59, s3
	v_cmp_ge_i32_e64 s10, v65, v68
	v_add_nc_u32_e32 v58, s73, v58
	s_wait_loadcnt 0x19
	s_delay_alu instid0(VALU_DEP_3) | instskip(SKIP_1) | instid1(VALU_DEP_1)
	v_fma_mix_f32 v69, v75, v73, v59 op_sel_hi:[0,1,0]
	s_or_b32 s39, s10, s39
	v_cndmask_b32_e64 v59, v59, v69, s4
	s_wait_loadcnt 0x18
	s_delay_alu instid0(VALU_DEP_1) | instskip(NEXT) | instid1(VALU_DEP_1)
	v_fma_mix_f32 v69, v74, v76, v59 op_sel_hi:[0,1,0]
	v_cndmask_b32_e64 v59, v59, v69, s5
	s_wait_loadcnt 0x17
	s_delay_alu instid0(VALU_DEP_1) | instskip(NEXT) | instid1(VALU_DEP_1)
	v_fma_mix_f32 v69, v79, v77, v59 op_sel_hi:[0,1,0]
	;; [unrolled: 4-line block ×23, first 2 shown]
	v_cndmask_b32_e32 v59, v59, v69, vcc_lo
	s_wait_loadcnt 0x1
	s_delay_alu instid0(VALU_DEP_1) | instskip(NEXT) | instid1(VALU_DEP_1)
	v_fma_mix_f32 v69, v124, v122, v59 op_sel_hi:[0,1,0]
	v_cndmask_b32_e64 v59, v59, v69, s0
	s_wait_loadcnt 0x0
	s_delay_alu instid0(VALU_DEP_1) | instskip(NEXT) | instid1(VALU_DEP_1)
	v_fma_mix_f32 v69, v121, v123, v59 op_sel_hi:[0,1,0]
	v_cndmask_b32_e64 v69, v59, v69, s1
	s_and_not1_b32 exec_lo, exec_lo, s39
	s_cbranch_execz .LBB25_2
.LBB25_7:                               ;   Parent Loop BB25_4 Depth=1
                                        ; =>  This Inner Loop Header: Depth=2
	global_load_u16 v70, v[2:3], off
	v_ashrrev_i32_e32 v59, 31, v58
	s_delay_alu instid0(VALU_DEP_1) | instskip(SKIP_1) | instid1(VALU_DEP_2)
	v_lshlrev_b64_e32 v[71:72], 1, v[58:59]
	v_mov_b32_e32 v59, 0
	v_add_co_u32 v71, s10, v66, v71
	s_wait_alu 0xf1ff
	s_delay_alu instid0(VALU_DEP_3)
	v_add_co_ci_u32_e64 v72, null, v67, v72, s10
	s_and_saveexec_b32 s27, vcc_hi
	s_cbranch_execz .LBB25_9
; %bb.8:                                ;   in Loop: Header=BB25_7 Depth=2
	v_add_co_u32 v73, s10, v71, v4
	s_wait_alu 0xf1ff
	v_add_co_ci_u32_e64 v74, null, v72, v5, s10
	global_load_u16 v59, v[73:74], off
	s_wait_loadcnt 0x0
	v_cvt_f32_f16_e32 v59, v59
.LBB25_9:                               ;   in Loop: Header=BB25_7 Depth=2
	s_wait_alu 0xfffe
	s_or_b32 exec_lo, exec_lo, s27
	global_load_u16 v73, v[2:3], off offset:2
	v_dual_mov_b32 v74, 0 :: v_dual_mov_b32 v75, 0
	s_and_saveexec_b32 s27, s56
	s_cbranch_execz .LBB25_11
; %bb.10:                               ;   in Loop: Header=BB25_7 Depth=2
	v_add_co_u32 v75, s10, v71, v6
	s_wait_alu 0xf1ff
	v_add_co_ci_u32_e64 v76, null, v72, v7, s10
	global_load_u16 v75, v[75:76], off
	s_wait_loadcnt 0x0
	v_cvt_f32_f16_e32 v75, v75
.LBB25_11:                              ;   in Loop: Header=BB25_7 Depth=2
	s_wait_alu 0xfffe
	s_or_b32 exec_lo, exec_lo, s27
	global_load_u16 v76, v[2:3], off offset:4
	s_and_saveexec_b32 s27, s38
	s_cbranch_execz .LBB25_13
; %bb.12:                               ;   in Loop: Header=BB25_7 Depth=2
	v_add_co_u32 v77, s10, v71, v8
	s_wait_alu 0xf1ff
	v_add_co_ci_u32_e64 v78, null, v72, v9, s10
	global_load_u16 v74, v[77:78], off
	s_wait_loadcnt 0x0
	v_cvt_f32_f16_e32 v74, v74
.LBB25_13:                              ;   in Loop: Header=BB25_7 Depth=2
	s_wait_alu 0xfffe
	s_or_b32 exec_lo, exec_lo, s27
	global_load_u16 v77, v[2:3], off offset:6
	v_dual_mov_b32 v78, 0 :: v_dual_mov_b32 v79, 0
	s_and_saveexec_b32 s27, s83
	s_cbranch_execz .LBB25_15
; %bb.14:                               ;   in Loop: Header=BB25_7 Depth=2
	v_add_co_u32 v79, s10, v71, v10
	s_wait_alu 0xf1ff
	v_add_co_ci_u32_e64 v80, null, v72, v11, s10
	global_load_u16 v79, v[79:80], off
	s_wait_loadcnt 0x0
	v_cvt_f32_f16_e32 v79, v79
.LBB25_15:                              ;   in Loop: Header=BB25_7 Depth=2
	s_wait_alu 0xfffe
	s_or_b32 exec_lo, exec_lo, s27
	global_load_u16 v80, v[2:3], off offset:8
	s_and_saveexec_b32 s27, s84
	s_cbranch_execz .LBB25_17
; %bb.16:                               ;   in Loop: Header=BB25_7 Depth=2
	v_add_co_u32 v81, s10, v71, v12
	s_wait_alu 0xf1ff
	v_add_co_ci_u32_e64 v82, null, v72, v13, s10
	global_load_u16 v78, v[81:82], off
	s_wait_loadcnt 0x0
	v_cvt_f32_f16_e32 v78, v78
.LBB25_17:                              ;   in Loop: Header=BB25_7 Depth=2
	s_wait_alu 0xfffe
	s_or_b32 exec_lo, exec_lo, s27
	global_load_u16 v81, v[2:3], off offset:10
	v_dual_mov_b32 v82, 0 :: v_dual_mov_b32 v83, 0
	s_and_saveexec_b32 s27, s37
	s_cbranch_execz .LBB25_19
; %bb.18:                               ;   in Loop: Header=BB25_7 Depth=2
	v_add_co_u32 v83, s10, v71, v14
	s_wait_alu 0xf1ff
	v_add_co_ci_u32_e64 v84, null, v72, v15, s10
	global_load_u16 v83, v[83:84], off
	s_wait_loadcnt 0x0
	v_cvt_f32_f16_e32 v83, v83
.LBB25_19:                              ;   in Loop: Header=BB25_7 Depth=2
	s_wait_alu 0xfffe
	s_or_b32 exec_lo, exec_lo, s27
	global_load_u16 v84, v[2:3], off offset:12
	s_and_saveexec_b32 s27, s31
	s_cbranch_execz .LBB25_21
; %bb.20:                               ;   in Loop: Header=BB25_7 Depth=2
	v_add_co_u32 v85, s10, v71, v16
	s_wait_alu 0xf1ff
	v_add_co_ci_u32_e64 v86, null, v72, v17, s10
	global_load_u16 v82, v[85:86], off
	s_wait_loadcnt 0x0
	v_cvt_f32_f16_e32 v82, v82
.LBB25_21:                              ;   in Loop: Header=BB25_7 Depth=2
	s_wait_alu 0xfffe
	s_or_b32 exec_lo, exec_lo, s27
	global_load_u16 v85, v[2:3], off offset:14
	v_dual_mov_b32 v86, 0 :: v_dual_mov_b32 v87, 0
	s_and_saveexec_b32 s27, s42
	s_cbranch_execz .LBB25_23
; %bb.22:                               ;   in Loop: Header=BB25_7 Depth=2
	v_add_co_u32 v87, s10, v71, v18
	s_wait_alu 0xf1ff
	v_add_co_ci_u32_e64 v88, null, v72, v19, s10
	global_load_u16 v87, v[87:88], off
	s_wait_loadcnt 0x0
	v_cvt_f32_f16_e32 v87, v87
.LBB25_23:                              ;   in Loop: Header=BB25_7 Depth=2
	s_wait_alu 0xfffe
	s_or_b32 exec_lo, exec_lo, s27
	global_load_u16 v88, v[2:3], off offset:16
	s_and_saveexec_b32 s27, s35
	s_cbranch_execz .LBB25_25
; %bb.24:                               ;   in Loop: Header=BB25_7 Depth=2
	v_add_co_u32 v89, s10, v71, v20
	s_wait_alu 0xf1ff
	v_add_co_ci_u32_e64 v90, null, v72, v21, s10
	global_load_u16 v86, v[89:90], off
	s_wait_loadcnt 0x0
	v_cvt_f32_f16_e32 v86, v86
.LBB25_25:                              ;   in Loop: Header=BB25_7 Depth=2
	s_wait_alu 0xfffe
	s_or_b32 exec_lo, exec_lo, s27
	global_load_u16 v89, v[2:3], off offset:18
	v_dual_mov_b32 v90, 0 :: v_dual_mov_b32 v91, 0
	s_and_saveexec_b32 s27, s36
	s_cbranch_execz .LBB25_27
; %bb.26:                               ;   in Loop: Header=BB25_7 Depth=2
	v_add_co_u32 v91, s10, v71, v22
	s_wait_alu 0xf1ff
	v_add_co_ci_u32_e64 v92, null, v72, v23, s10
	global_load_u16 v91, v[91:92], off
	s_wait_loadcnt 0x0
	v_cvt_f32_f16_e32 v91, v91
.LBB25_27:                              ;   in Loop: Header=BB25_7 Depth=2
	s_wait_alu 0xfffe
	s_or_b32 exec_lo, exec_lo, s27
	global_load_u16 v92, v[2:3], off offset:20
	s_and_saveexec_b32 s27, s43
	s_cbranch_execz .LBB25_29
; %bb.28:                               ;   in Loop: Header=BB25_7 Depth=2
	v_add_co_u32 v93, s10, v71, v24
	s_wait_alu 0xf1ff
	v_add_co_ci_u32_e64 v94, null, v72, v25, s10
	global_load_u16 v90, v[93:94], off
	s_wait_loadcnt 0x0
	v_cvt_f32_f16_e32 v90, v90
.LBB25_29:                              ;   in Loop: Header=BB25_7 Depth=2
	s_wait_alu 0xfffe
	s_or_b32 exec_lo, exec_lo, s27
	global_load_u16 v93, v[2:3], off offset:22
	v_dual_mov_b32 v94, 0 :: v_dual_mov_b32 v95, 0
	s_and_saveexec_b32 s27, s44
	s_cbranch_execz .LBB25_31
; %bb.30:                               ;   in Loop: Header=BB25_7 Depth=2
	v_add_co_u32 v95, s10, v71, v26
	s_wait_alu 0xf1ff
	v_add_co_ci_u32_e64 v96, null, v72, v27, s10
	global_load_u16 v95, v[95:96], off
	s_wait_loadcnt 0x0
	v_cvt_f32_f16_e32 v95, v95
.LBB25_31:                              ;   in Loop: Header=BB25_7 Depth=2
	s_wait_alu 0xfffe
	s_or_b32 exec_lo, exec_lo, s27
	global_load_u16 v96, v[2:3], off offset:24
	s_and_saveexec_b32 s27, s85
	s_cbranch_execz .LBB25_33
; %bb.32:                               ;   in Loop: Header=BB25_7 Depth=2
	v_add_co_u32 v97, s10, v71, v28
	s_wait_alu 0xf1ff
	v_add_co_ci_u32_e64 v98, null, v72, v29, s10
	global_load_u16 v94, v[97:98], off
	s_wait_loadcnt 0x0
	v_cvt_f32_f16_e32 v94, v94
.LBB25_33:                              ;   in Loop: Header=BB25_7 Depth=2
	s_wait_alu 0xfffe
	s_or_b32 exec_lo, exec_lo, s27
	global_load_u16 v97, v[2:3], off offset:26
	v_dual_mov_b32 v98, 0 :: v_dual_mov_b32 v99, 0
	s_and_saveexec_b32 s27, s80
	s_cbranch_execz .LBB25_35
; %bb.34:                               ;   in Loop: Header=BB25_7 Depth=2
	v_add_co_u32 v99, s10, v71, v30
	s_wait_alu 0xf1ff
	v_add_co_ci_u32_e64 v100, null, v72, v31, s10
	global_load_u16 v99, v[99:100], off
	s_wait_loadcnt 0x0
	v_cvt_f32_f16_e32 v99, v99
.LBB25_35:                              ;   in Loop: Header=BB25_7 Depth=2
	s_wait_alu 0xfffe
	s_or_b32 exec_lo, exec_lo, s27
	global_load_u16 v100, v[2:3], off offset:28
	s_and_saveexec_b32 s27, s79
	s_cbranch_execz .LBB25_37
; %bb.36:                               ;   in Loop: Header=BB25_7 Depth=2
	v_add_co_u32 v101, s10, v71, v32
	s_wait_alu 0xf1ff
	v_add_co_ci_u32_e64 v102, null, v72, v33, s10
	global_load_u16 v98, v[101:102], off
	s_wait_loadcnt 0x0
	v_cvt_f32_f16_e32 v98, v98
.LBB25_37:                              ;   in Loop: Header=BB25_7 Depth=2
	s_wait_alu 0xfffe
	s_or_b32 exec_lo, exec_lo, s27
	global_load_u16 v101, v[2:3], off offset:30
	v_dual_mov_b32 v102, 0 :: v_dual_mov_b32 v103, 0
	s_and_saveexec_b32 s27, s81
	s_cbranch_execz .LBB25_39
; %bb.38:                               ;   in Loop: Header=BB25_7 Depth=2
	v_add_co_u32 v103, s10, v71, v34
	s_wait_alu 0xf1ff
	v_add_co_ci_u32_e64 v104, null, v72, v35, s10
	global_load_u16 v103, v[103:104], off
	s_wait_loadcnt 0x0
	v_cvt_f32_f16_e32 v103, v103
.LBB25_39:                              ;   in Loop: Header=BB25_7 Depth=2
	s_wait_alu 0xfffe
	s_or_b32 exec_lo, exec_lo, s27
	global_load_u16 v104, v[2:3], off offset:32
	s_and_saveexec_b32 s27, s82
	s_cbranch_execz .LBB25_41
; %bb.40:                               ;   in Loop: Header=BB25_7 Depth=2
	v_add_co_u32 v105, s10, v71, v36
	s_wait_alu 0xf1ff
	v_add_co_ci_u32_e64 v106, null, v72, v37, s10
	global_load_u16 v102, v[105:106], off
	s_wait_loadcnt 0x0
	v_cvt_f32_f16_e32 v102, v102
.LBB25_41:                              ;   in Loop: Header=BB25_7 Depth=2
	s_wait_alu 0xfffe
	s_or_b32 exec_lo, exec_lo, s27
	global_load_u16 v105, v[2:3], off offset:34
	v_dual_mov_b32 v106, 0 :: v_dual_mov_b32 v107, 0
	s_and_saveexec_b32 s27, s33
	s_cbranch_execz .LBB25_43
; %bb.42:                               ;   in Loop: Header=BB25_7 Depth=2
	v_add_co_u32 v107, s10, v71, v38
	s_wait_alu 0xf1ff
	v_add_co_ci_u32_e64 v108, null, v72, v39, s10
	global_load_u16 v107, v[107:108], off
	s_wait_loadcnt 0x0
	v_cvt_f32_f16_e32 v107, v107
.LBB25_43:                              ;   in Loop: Header=BB25_7 Depth=2
	s_wait_alu 0xfffe
	s_or_b32 exec_lo, exec_lo, s27
	global_load_u16 v108, v[2:3], off offset:36
	s_and_saveexec_b32 s27, s89
	s_cbranch_execz .LBB25_45
; %bb.44:                               ;   in Loop: Header=BB25_7 Depth=2
	v_add_co_u32 v109, s10, v71, v40
	s_wait_alu 0xf1ff
	v_add_co_ci_u32_e64 v110, null, v72, v41, s10
	global_load_u16 v106, v[109:110], off
	s_wait_loadcnt 0x0
	v_cvt_f32_f16_e32 v106, v106
.LBB25_45:                              ;   in Loop: Header=BB25_7 Depth=2
	s_wait_alu 0xfffe
	s_or_b32 exec_lo, exec_lo, s27
	global_load_u16 v109, v[2:3], off offset:38
	v_dual_mov_b32 v110, 0 :: v_dual_mov_b32 v111, 0
	s_and_saveexec_b32 s27, s90
	s_cbranch_execz .LBB25_47
; %bb.46:                               ;   in Loop: Header=BB25_7 Depth=2
	v_add_co_u32 v111, s10, v71, v42
	s_wait_alu 0xf1ff
	v_add_co_ci_u32_e64 v112, null, v72, v43, s10
	global_load_u16 v111, v[111:112], off
	s_wait_loadcnt 0x0
	v_cvt_f32_f16_e32 v111, v111
.LBB25_47:                              ;   in Loop: Header=BB25_7 Depth=2
	s_wait_alu 0xfffe
	s_or_b32 exec_lo, exec_lo, s27
	global_load_u16 v112, v[2:3], off offset:40
	s_and_saveexec_b32 s27, s91
	s_cbranch_execz .LBB25_49
; %bb.48:                               ;   in Loop: Header=BB25_7 Depth=2
	v_add_co_u32 v113, s10, v71, v44
	s_wait_alu 0xf1ff
	v_add_co_ci_u32_e64 v114, null, v72, v45, s10
	global_load_u16 v110, v[113:114], off
	s_wait_loadcnt 0x0
	v_cvt_f32_f16_e32 v110, v110
.LBB25_49:                              ;   in Loop: Header=BB25_7 Depth=2
	s_wait_alu 0xfffe
	s_or_b32 exec_lo, exec_lo, s27
	global_load_u16 v113, v[2:3], off offset:42
	v_dual_mov_b32 v114, 0 :: v_dual_mov_b32 v115, 0
	s_and_saveexec_b32 s27, s29
	s_cbranch_execz .LBB25_51
; %bb.50:                               ;   in Loop: Header=BB25_7 Depth=2
	v_add_co_u32 v115, s10, v71, v46
	s_wait_alu 0xf1ff
	v_add_co_ci_u32_e64 v116, null, v72, v47, s10
	global_load_u16 v115, v[115:116], off
	s_wait_loadcnt 0x0
	v_cvt_f32_f16_e32 v115, v115
.LBB25_51:                              ;   in Loop: Header=BB25_7 Depth=2
	s_wait_alu 0xfffe
	s_or_b32 exec_lo, exec_lo, s27
	global_load_u16 v116, v[2:3], off offset:44
	s_and_saveexec_b32 s27, s30
	s_cbranch_execz .LBB25_53
; %bb.52:                               ;   in Loop: Header=BB25_7 Depth=2
	v_add_co_u32 v117, s10, v71, v48
	s_wait_alu 0xf1ff
	v_add_co_ci_u32_e64 v118, null, v72, v49, s10
	global_load_u16 v114, v[117:118], off
	s_wait_loadcnt 0x0
	v_cvt_f32_f16_e32 v114, v114
.LBB25_53:                              ;   in Loop: Header=BB25_7 Depth=2
	s_wait_alu 0xfffe
	s_or_b32 exec_lo, exec_lo, s27
	global_load_u16 v117, v[2:3], off offset:46
	v_dual_mov_b32 v118, 0 :: v_dual_mov_b32 v119, 0
	s_and_saveexec_b32 s27, s34
	s_cbranch_execz .LBB25_55
; %bb.54:                               ;   in Loop: Header=BB25_7 Depth=2
	v_add_co_u32 v119, s10, v71, v50
	s_wait_alu 0xf1ff
	v_add_co_ci_u32_e64 v120, null, v72, v51, s10
	global_load_u16 v119, v[119:120], off
	s_wait_loadcnt 0x0
	v_cvt_f32_f16_e32 v119, v119
.LBB25_55:                              ;   in Loop: Header=BB25_7 Depth=2
	s_wait_alu 0xfffe
	s_or_b32 exec_lo, exec_lo, s27
	global_load_u16 v120, v[2:3], off offset:48
	s_and_saveexec_b32 s27, s95
	s_cbranch_execz .LBB25_57
; %bb.56:                               ;   in Loop: Header=BB25_7 Depth=2
	v_add_co_u32 v121, s10, v71, v52
	s_wait_alu 0xf1ff
	v_add_co_ci_u32_e64 v122, null, v72, v53, s10
	global_load_u16 v118, v[121:122], off
	s_wait_loadcnt 0x0
	v_cvt_f32_f16_e32 v118, v118
.LBB25_57:                              ;   in Loop: Header=BB25_7 Depth=2
	s_wait_alu 0xfffe
	s_or_b32 exec_lo, exec_lo, s27
	global_load_u16 v122, v[2:3], off offset:50
	v_dual_mov_b32 v121, 0 :: v_dual_mov_b32 v124, 0
	s_and_saveexec_b32 s27, s40
	s_cbranch_execz .LBB25_59
; %bb.58:                               ;   in Loop: Header=BB25_7 Depth=2
	v_add_co_u32 v123, s10, v71, v54
	s_wait_alu 0xf1ff
	v_add_co_ci_u32_e64 v124, null, v72, v55, s10
	global_load_u16 v123, v[123:124], off
	s_wait_loadcnt 0x0
	v_cvt_f32_f16_e32 v124, v123
.LBB25_59:                              ;   in Loop: Header=BB25_7 Depth=2
	s_wait_alu 0xfffe
	s_or_b32 exec_lo, exec_lo, s27
	global_load_u16 v123, v[2:3], off offset:52
	s_and_saveexec_b32 s27, s28
	s_cbranch_execz .LBB25_6
; %bb.60:                               ;   in Loop: Header=BB25_7 Depth=2
	v_add_co_u32 v71, s10, v71, v56
	s_wait_alu 0xf1ff
	v_add_co_ci_u32_e64 v72, null, v72, v57, s10
	global_load_u16 v71, v[71:72], off
	s_wait_loadcnt 0x0
	v_cvt_f32_f16_e32 v121, v71
	s_branch .LBB25_6
.LBB25_61:                              ;   in Loop: Header=BB25_4 Depth=1
	v_mov_b32_e32 v2, 0
	s_branch .LBB25_3
.LBB25_62:
	s_nop 0
	s_sendmsg sendmsg(MSG_DEALLOC_VGPRS)
	s_endpgm
	.section	.rodata,"a",@progbits
	.p2align	6, 0x0
	.amdhsa_kernel _ZN2at6native12_GLOBAL__N_143conv_depthwise3d_cuda_backward_input_kernelIN3c104HalfEfLi3ELi3ELi3ELin1ELin1ELin1ELin1ELin1ELin1EEEvN5torch10headeronly6detail27GenericPackedTensorAccessorINS7_14TensorAccessorINS3_8ArrayRefIlEEKT_Lm4ENS6_16DefaultPtrTraitsEiEENS_6detail16IndexBoundsCheckILm5EiEESD_Lm5ESE_iEENS8_INS9_ISB_SC_Lm4ESE_iEESI_SC_Lm5ESE_iEESJ_iiiiiiiii
		.amdhsa_group_segment_fixed_size 0
		.amdhsa_private_segment_fixed_size 0
		.amdhsa_kernarg_size 440
		.amdhsa_user_sgpr_count 2
		.amdhsa_user_sgpr_dispatch_ptr 0
		.amdhsa_user_sgpr_queue_ptr 0
		.amdhsa_user_sgpr_kernarg_segment_ptr 1
		.amdhsa_user_sgpr_dispatch_id 0
		.amdhsa_user_sgpr_private_segment_size 0
		.amdhsa_wavefront_size32 1
		.amdhsa_uses_dynamic_stack 0
		.amdhsa_enable_private_segment 0
		.amdhsa_system_sgpr_workgroup_id_x 1
		.amdhsa_system_sgpr_workgroup_id_y 0
		.amdhsa_system_sgpr_workgroup_id_z 0
		.amdhsa_system_sgpr_workgroup_info 0
		.amdhsa_system_vgpr_workitem_id 0
		.amdhsa_next_free_vgpr 126
		.amdhsa_next_free_sgpr 105
		.amdhsa_reserve_vcc 1
		.amdhsa_float_round_mode_32 0
		.amdhsa_float_round_mode_16_64 0
		.amdhsa_float_denorm_mode_32 3
		.amdhsa_float_denorm_mode_16_64 3
		.amdhsa_fp16_overflow 0
		.amdhsa_workgroup_processor_mode 1
		.amdhsa_memory_ordered 1
		.amdhsa_forward_progress 1
		.amdhsa_inst_pref_size 58
		.amdhsa_round_robin_scheduling 0
		.amdhsa_exception_fp_ieee_invalid_op 0
		.amdhsa_exception_fp_denorm_src 0
		.amdhsa_exception_fp_ieee_div_zero 0
		.amdhsa_exception_fp_ieee_overflow 0
		.amdhsa_exception_fp_ieee_underflow 0
		.amdhsa_exception_fp_ieee_inexact 0
		.amdhsa_exception_int_div_zero 0
	.end_amdhsa_kernel
	.section	.text._ZN2at6native12_GLOBAL__N_143conv_depthwise3d_cuda_backward_input_kernelIN3c104HalfEfLi3ELi3ELi3ELin1ELin1ELin1ELin1ELin1ELin1EEEvN5torch10headeronly6detail27GenericPackedTensorAccessorINS7_14TensorAccessorINS3_8ArrayRefIlEEKT_Lm4ENS6_16DefaultPtrTraitsEiEENS_6detail16IndexBoundsCheckILm5EiEESD_Lm5ESE_iEENS8_INS9_ISB_SC_Lm4ESE_iEESI_SC_Lm5ESE_iEESJ_iiiiiiiii,"axG",@progbits,_ZN2at6native12_GLOBAL__N_143conv_depthwise3d_cuda_backward_input_kernelIN3c104HalfEfLi3ELi3ELi3ELin1ELin1ELin1ELin1ELin1ELin1EEEvN5torch10headeronly6detail27GenericPackedTensorAccessorINS7_14TensorAccessorINS3_8ArrayRefIlEEKT_Lm4ENS6_16DefaultPtrTraitsEiEENS_6detail16IndexBoundsCheckILm5EiEESD_Lm5ESE_iEENS8_INS9_ISB_SC_Lm4ESE_iEESI_SC_Lm5ESE_iEESJ_iiiiiiiii,comdat
.Lfunc_end25:
	.size	_ZN2at6native12_GLOBAL__N_143conv_depthwise3d_cuda_backward_input_kernelIN3c104HalfEfLi3ELi3ELi3ELin1ELin1ELin1ELin1ELin1ELin1EEEvN5torch10headeronly6detail27GenericPackedTensorAccessorINS7_14TensorAccessorINS3_8ArrayRefIlEEKT_Lm4ENS6_16DefaultPtrTraitsEiEENS_6detail16IndexBoundsCheckILm5EiEESD_Lm5ESE_iEENS8_INS9_ISB_SC_Lm4ESE_iEESI_SC_Lm5ESE_iEESJ_iiiiiiiii, .Lfunc_end25-_ZN2at6native12_GLOBAL__N_143conv_depthwise3d_cuda_backward_input_kernelIN3c104HalfEfLi3ELi3ELi3ELin1ELin1ELin1ELin1ELin1ELin1EEEvN5torch10headeronly6detail27GenericPackedTensorAccessorINS7_14TensorAccessorINS3_8ArrayRefIlEEKT_Lm4ENS6_16DefaultPtrTraitsEiEENS_6detail16IndexBoundsCheckILm5EiEESD_Lm5ESE_iEENS8_INS9_ISB_SC_Lm4ESE_iEESI_SC_Lm5ESE_iEESJ_iiiiiiiii
                                        ; -- End function
	.set _ZN2at6native12_GLOBAL__N_143conv_depthwise3d_cuda_backward_input_kernelIN3c104HalfEfLi3ELi3ELi3ELin1ELin1ELin1ELin1ELin1ELin1EEEvN5torch10headeronly6detail27GenericPackedTensorAccessorINS7_14TensorAccessorINS3_8ArrayRefIlEEKT_Lm4ENS6_16DefaultPtrTraitsEiEENS_6detail16IndexBoundsCheckILm5EiEESD_Lm5ESE_iEENS8_INS9_ISB_SC_Lm4ESE_iEESI_SC_Lm5ESE_iEESJ_iiiiiiiii.num_vgpr, 126
	.set _ZN2at6native12_GLOBAL__N_143conv_depthwise3d_cuda_backward_input_kernelIN3c104HalfEfLi3ELi3ELi3ELin1ELin1ELin1ELin1ELin1ELin1EEEvN5torch10headeronly6detail27GenericPackedTensorAccessorINS7_14TensorAccessorINS3_8ArrayRefIlEEKT_Lm4ENS6_16DefaultPtrTraitsEiEENS_6detail16IndexBoundsCheckILm5EiEESD_Lm5ESE_iEENS8_INS9_ISB_SC_Lm4ESE_iEESI_SC_Lm5ESE_iEESJ_iiiiiiiii.num_agpr, 0
	.set _ZN2at6native12_GLOBAL__N_143conv_depthwise3d_cuda_backward_input_kernelIN3c104HalfEfLi3ELi3ELi3ELin1ELin1ELin1ELin1ELin1ELin1EEEvN5torch10headeronly6detail27GenericPackedTensorAccessorINS7_14TensorAccessorINS3_8ArrayRefIlEEKT_Lm4ENS6_16DefaultPtrTraitsEiEENS_6detail16IndexBoundsCheckILm5EiEESD_Lm5ESE_iEENS8_INS9_ISB_SC_Lm4ESE_iEESI_SC_Lm5ESE_iEESJ_iiiiiiiii.numbered_sgpr, 105
	.set _ZN2at6native12_GLOBAL__N_143conv_depthwise3d_cuda_backward_input_kernelIN3c104HalfEfLi3ELi3ELi3ELin1ELin1ELin1ELin1ELin1ELin1EEEvN5torch10headeronly6detail27GenericPackedTensorAccessorINS7_14TensorAccessorINS3_8ArrayRefIlEEKT_Lm4ENS6_16DefaultPtrTraitsEiEENS_6detail16IndexBoundsCheckILm5EiEESD_Lm5ESE_iEENS8_INS9_ISB_SC_Lm4ESE_iEESI_SC_Lm5ESE_iEESJ_iiiiiiiii.num_named_barrier, 0
	.set _ZN2at6native12_GLOBAL__N_143conv_depthwise3d_cuda_backward_input_kernelIN3c104HalfEfLi3ELi3ELi3ELin1ELin1ELin1ELin1ELin1ELin1EEEvN5torch10headeronly6detail27GenericPackedTensorAccessorINS7_14TensorAccessorINS3_8ArrayRefIlEEKT_Lm4ENS6_16DefaultPtrTraitsEiEENS_6detail16IndexBoundsCheckILm5EiEESD_Lm5ESE_iEENS8_INS9_ISB_SC_Lm4ESE_iEESI_SC_Lm5ESE_iEESJ_iiiiiiiii.private_seg_size, 0
	.set _ZN2at6native12_GLOBAL__N_143conv_depthwise3d_cuda_backward_input_kernelIN3c104HalfEfLi3ELi3ELi3ELin1ELin1ELin1ELin1ELin1ELin1EEEvN5torch10headeronly6detail27GenericPackedTensorAccessorINS7_14TensorAccessorINS3_8ArrayRefIlEEKT_Lm4ENS6_16DefaultPtrTraitsEiEENS_6detail16IndexBoundsCheckILm5EiEESD_Lm5ESE_iEENS8_INS9_ISB_SC_Lm4ESE_iEESI_SC_Lm5ESE_iEESJ_iiiiiiiii.uses_vcc, 1
	.set _ZN2at6native12_GLOBAL__N_143conv_depthwise3d_cuda_backward_input_kernelIN3c104HalfEfLi3ELi3ELi3ELin1ELin1ELin1ELin1ELin1ELin1EEEvN5torch10headeronly6detail27GenericPackedTensorAccessorINS7_14TensorAccessorINS3_8ArrayRefIlEEKT_Lm4ENS6_16DefaultPtrTraitsEiEENS_6detail16IndexBoundsCheckILm5EiEESD_Lm5ESE_iEENS8_INS9_ISB_SC_Lm4ESE_iEESI_SC_Lm5ESE_iEESJ_iiiiiiiii.uses_flat_scratch, 0
	.set _ZN2at6native12_GLOBAL__N_143conv_depthwise3d_cuda_backward_input_kernelIN3c104HalfEfLi3ELi3ELi3ELin1ELin1ELin1ELin1ELin1ELin1EEEvN5torch10headeronly6detail27GenericPackedTensorAccessorINS7_14TensorAccessorINS3_8ArrayRefIlEEKT_Lm4ENS6_16DefaultPtrTraitsEiEENS_6detail16IndexBoundsCheckILm5EiEESD_Lm5ESE_iEENS8_INS9_ISB_SC_Lm4ESE_iEESI_SC_Lm5ESE_iEESJ_iiiiiiiii.has_dyn_sized_stack, 0
	.set _ZN2at6native12_GLOBAL__N_143conv_depthwise3d_cuda_backward_input_kernelIN3c104HalfEfLi3ELi3ELi3ELin1ELin1ELin1ELin1ELin1ELin1EEEvN5torch10headeronly6detail27GenericPackedTensorAccessorINS7_14TensorAccessorINS3_8ArrayRefIlEEKT_Lm4ENS6_16DefaultPtrTraitsEiEENS_6detail16IndexBoundsCheckILm5EiEESD_Lm5ESE_iEENS8_INS9_ISB_SC_Lm4ESE_iEESI_SC_Lm5ESE_iEESJ_iiiiiiiii.has_recursion, 0
	.set _ZN2at6native12_GLOBAL__N_143conv_depthwise3d_cuda_backward_input_kernelIN3c104HalfEfLi3ELi3ELi3ELin1ELin1ELin1ELin1ELin1ELin1EEEvN5torch10headeronly6detail27GenericPackedTensorAccessorINS7_14TensorAccessorINS3_8ArrayRefIlEEKT_Lm4ENS6_16DefaultPtrTraitsEiEENS_6detail16IndexBoundsCheckILm5EiEESD_Lm5ESE_iEENS8_INS9_ISB_SC_Lm4ESE_iEESI_SC_Lm5ESE_iEESJ_iiiiiiiii.has_indirect_call, 0
	.section	.AMDGPU.csdata,"",@progbits
; Kernel info:
; codeLenInByte = 7380
; TotalNumSgprs: 107
; NumVgprs: 126
; ScratchSize: 0
; MemoryBound: 0
; FloatMode: 240
; IeeeMode: 1
; LDSByteSize: 0 bytes/workgroup (compile time only)
; SGPRBlocks: 0
; VGPRBlocks: 15
; NumSGPRsForWavesPerEU: 107
; NumVGPRsForWavesPerEU: 126
; Occupancy: 10
; WaveLimiterHint : 0
; COMPUTE_PGM_RSRC2:SCRATCH_EN: 0
; COMPUTE_PGM_RSRC2:USER_SGPR: 2
; COMPUTE_PGM_RSRC2:TRAP_HANDLER: 0
; COMPUTE_PGM_RSRC2:TGID_X_EN: 1
; COMPUTE_PGM_RSRC2:TGID_Y_EN: 0
; COMPUTE_PGM_RSRC2:TGID_Z_EN: 0
; COMPUTE_PGM_RSRC2:TIDIG_COMP_CNT: 0
	.section	.text._ZN2at6native12_GLOBAL__N_143conv_depthwise3d_cuda_backward_input_kernelIN3c104HalfEfLin1ELin1ELin1ELin1ELin1ELin1ELin1ELin1ELin1EEEvN5torch10headeronly6detail27GenericPackedTensorAccessorINS7_14TensorAccessorINS3_8ArrayRefIlEEKT_Lm4ENS6_16DefaultPtrTraitsEiEENS_6detail16IndexBoundsCheckILm5EiEESD_Lm5ESE_iEENS8_INS9_ISB_SC_Lm4ESE_iEESI_SC_Lm5ESE_iEESJ_iiiiiiiii,"axG",@progbits,_ZN2at6native12_GLOBAL__N_143conv_depthwise3d_cuda_backward_input_kernelIN3c104HalfEfLin1ELin1ELin1ELin1ELin1ELin1ELin1ELin1ELin1EEEvN5torch10headeronly6detail27GenericPackedTensorAccessorINS7_14TensorAccessorINS3_8ArrayRefIlEEKT_Lm4ENS6_16DefaultPtrTraitsEiEENS_6detail16IndexBoundsCheckILm5EiEESD_Lm5ESE_iEENS8_INS9_ISB_SC_Lm4ESE_iEESI_SC_Lm5ESE_iEESJ_iiiiiiiii,comdat
	.globl	_ZN2at6native12_GLOBAL__N_143conv_depthwise3d_cuda_backward_input_kernelIN3c104HalfEfLin1ELin1ELin1ELin1ELin1ELin1ELin1ELin1ELin1EEEvN5torch10headeronly6detail27GenericPackedTensorAccessorINS7_14TensorAccessorINS3_8ArrayRefIlEEKT_Lm4ENS6_16DefaultPtrTraitsEiEENS_6detail16IndexBoundsCheckILm5EiEESD_Lm5ESE_iEENS8_INS9_ISB_SC_Lm4ESE_iEESI_SC_Lm5ESE_iEESJ_iiiiiiiii ; -- Begin function _ZN2at6native12_GLOBAL__N_143conv_depthwise3d_cuda_backward_input_kernelIN3c104HalfEfLin1ELin1ELin1ELin1ELin1ELin1ELin1ELin1ELin1EEEvN5torch10headeronly6detail27GenericPackedTensorAccessorINS7_14TensorAccessorINS3_8ArrayRefIlEEKT_Lm4ENS6_16DefaultPtrTraitsEiEENS_6detail16IndexBoundsCheckILm5EiEESD_Lm5ESE_iEENS8_INS9_ISB_SC_Lm4ESE_iEESI_SC_Lm5ESE_iEESJ_iiiiiiiii
	.p2align	8
	.type	_ZN2at6native12_GLOBAL__N_143conv_depthwise3d_cuda_backward_input_kernelIN3c104HalfEfLin1ELin1ELin1ELin1ELin1ELin1ELin1ELin1ELin1EEEvN5torch10headeronly6detail27GenericPackedTensorAccessorINS7_14TensorAccessorINS3_8ArrayRefIlEEKT_Lm4ENS6_16DefaultPtrTraitsEiEENS_6detail16IndexBoundsCheckILm5EiEESD_Lm5ESE_iEENS8_INS9_ISB_SC_Lm4ESE_iEESI_SC_Lm5ESE_iEESJ_iiiiiiiii,@function
_ZN2at6native12_GLOBAL__N_143conv_depthwise3d_cuda_backward_input_kernelIN3c104HalfEfLin1ELin1ELin1ELin1ELin1ELin1ELin1ELin1ELin1EEEvN5torch10headeronly6detail27GenericPackedTensorAccessorINS7_14TensorAccessorINS3_8ArrayRefIlEEKT_Lm4ENS6_16DefaultPtrTraitsEiEENS_6detail16IndexBoundsCheckILm5EiEESD_Lm5ESE_iEENS8_INS9_ISB_SC_Lm4ESE_iEESI_SC_Lm5ESE_iEESJ_iiiiiiiii: ; @_ZN2at6native12_GLOBAL__N_143conv_depthwise3d_cuda_backward_input_kernelIN3c104HalfEfLin1ELin1ELin1ELin1ELin1ELin1ELin1ELin1ELin1EEEvN5torch10headeronly6detail27GenericPackedTensorAccessorINS7_14TensorAccessorINS3_8ArrayRefIlEEKT_Lm4ENS6_16DefaultPtrTraitsEiEENS_6detail16IndexBoundsCheckILm5EiEESD_Lm5ESE_iEENS8_INS9_ISB_SC_Lm4ESE_iEESI_SC_Lm5ESE_iEESJ_iiiiiiiii
; %bb.0:
	s_clause 0x2
	s_load_b128 s[16:19], s[0:1], 0x38
	s_load_b32 s2, s[0:1], 0xc4
	s_load_b64 s[6:7], s[0:1], 0x48
	v_mov_b32_e32 v1, 0
	s_mov_b32 s4, exec_lo
	s_wait_kmcnt 0x0
	s_abs_i32 s33, s17
	s_and_b32 s2, s2, 0xffff
	s_cvt_f32_u32 s3, s33
	v_mad_co_u64_u32 v[0:1], null, s2, ttmp9, v[0:1]
	s_mul_i32 s34, s7, s16
	s_delay_alu instid0(SALU_CYCLE_1) | instskip(SKIP_1) | instid1(TRANS32_DEP_1)
	v_rcp_iflag_f32_e32 v2, s3
	s_ashr_i32 s35, s34, 31
	v_readfirstlane_b32 s3, v2
	v_cmpx_gt_i64_e64 s[34:35], v[0:1]
	s_cbranch_execz .LBB26_19
; %bb.1:
	s_clause 0x1
	s_load_b128 s[20:23], s[0:1], 0xc
	s_load_b64 s[38:39], s[0:1], 0x0
	s_mul_f32 s3, s3, 0x4f7ffffe
	s_sub_co_i32 s63, 0, s33
	s_mov_b32 s37, 0
	s_load_b128 s[24:27], s[0:1], 0x70
	s_cvt_u32_f32 s3, s3
	s_mov_b32 s5, s37
	s_ashr_i32 s16, s17, 31
	s_add_nc_u64 s[8:9], s[0:1], 0xb8
	s_wait_alu 0xfffe
	s_mul_i32 s4, s63, s3
	s_load_b32 s49, s[8:9], 0x0
	s_mul_hi_u32 s4, s3, s4
	s_clause 0x1
	s_load_b64 s[40:41], s[0:1], 0x1c
	s_load_b64 s[42:43], s[0:1], 0x30
	s_add_co_i32 s4, s3, s4
	s_clause 0x1
	s_load_b64 s[44:45], s[0:1], 0x60
	s_load_b128 s[28:31], s[0:1], 0x50
	s_wait_kmcnt 0x0
	s_abs_i32 s36, s20
	s_ashr_i32 s3, s20, 31
	s_mul_u64 s[4:5], s[36:37], s[4:5]
	s_wait_alu 0xfffe
	s_xor_b32 s3, s3, s16
	s_mul_i32 s4, s5, s33
	s_add_co_i32 s10, s5, 1
	s_sub_co_i32 s4, s36, s4
	s_delay_alu instid0(SALU_CYCLE_1)
	s_sub_co_i32 s11, s4, s33
	s_cmp_ge_u32 s4, s33
	s_mul_i32 s49, s49, s2
	s_cselect_b32 s5, s10, s5
	s_cselect_b32 s4, s11, s4
	s_add_co_i32 s20, s5, 1
	s_cmp_ge_u32 s4, s33
	s_load_b256 s[8:15], s[0:1], 0x90
	s_cselect_b32 s4, s20, s5
	s_load_b32 s20, s[0:1], 0xb0
	s_xor_b32 s4, s4, s3
	s_delay_alu instid0(SALU_CYCLE_1)
	s_sub_co_i32 s36, s4, s3
	s_cmp_gt_i32 s24, 0
	v_readfirstlane_b32 s3, v2
	s_cselect_b32 s46, -1, 0
	s_cmp_gt_i32 s25, 0
	s_cselect_b32 s47, -1, 0
	s_cmp_gt_i32 s26, 0
	s_mul_f32 s0, s3, 0x4f7ffffe
	s_cselect_b32 s48, -1, 0
	s_cmp_gt_i32 s36, 0
	s_cselect_b32 s50, -1, 0
	s_abs_i32 s52, s6
	s_abs_i32 s55, s18
	s_cvt_f32_u32 s1, s52
	s_cvt_f32_u32 s3, s55
	s_abs_i32 s54, s19
	s_wait_kmcnt 0x0
	s_abs_i32 s57, s8
	s_wait_alu 0xfffe
	v_rcp_iflag_f32_e32 v2, s1
	s_cvt_f32_u32 s2, s54
	v_rcp_iflag_f32_e32 v4, s3
	s_cvt_f32_u32 s1, s57
	s_abs_i32 s58, s9
	s_wait_alu 0xfffe
	v_rcp_iflag_f32_e32 v3, s2
	s_sub_co_i32 s2, 0, s52
	v_rcp_iflag_f32_e32 v5, s1
	s_cvt_f32_u32 s61, s58
	s_abs_i32 s59, s10
	v_readfirstlane_b32 s1, v2
	s_sub_co_i32 s60, 0, s55
	v_readfirstlane_b32 s5, v4
	v_rcp_iflag_f32_e32 v2, s61
	s_sub_co_i32 s3, 0, s54
	s_mul_f32 s1, s1, 0x4f7ffffe
	v_readfirstlane_b32 s4, v3
	s_mul_f32 s5, s5, 0x4f7ffffe
	v_readfirstlane_b32 s62, v5
	s_wait_alu 0xfffe
	s_cvt_u32_f32 s1, s1
	s_cvt_u32_f32 s0, s0
	s_mul_f32 s4, s4, 0x4f7ffffe
	s_cvt_u32_f32 s5, s5
	s_wait_alu 0xfffe
	s_mul_i32 s2, s2, s1
	s_mul_i32 s63, s63, s0
	s_wait_alu 0xfffe
	s_mul_hi_u32 s2, s1, s2
	s_cvt_u32_f32 s4, s4
	s_mul_i32 s64, s60, s5
	s_wait_alu 0xfffe
	s_add_co_i32 s60, s1, s2
	s_cvt_f32_u32 s1, s59
	s_mul_i32 s3, s3, s4
	s_mul_hi_u32 s2, s5, s64
	s_wait_alu 0xfffe
	s_mul_hi_u32 s3, s4, s3
	v_rcp_iflag_f32_e32 v3, s1
	s_wait_alu 0xfffe
	s_add_co_i32 s61, s4, s3
	s_mul_f32 s3, s62, 0x4f7ffffe
	s_add_co_i32 s62, s5, s2
	v_readfirstlane_b32 s2, v2
	s_sub_co_i32 s4, 0, s57
	s_wait_alu 0xfffe
	s_cvt_u32_f32 s1, s3
	s_mul_hi_u32 s3, s0, s63
	s_ashr_i32 s51, s6, 31
	s_wait_alu 0xfffe
	s_add_co_i32 s63, s0, s3
	s_mul_f32 s0, s2, 0x4f7ffffe
	v_readfirstlane_b32 s2, v3
	s_mul_i32 s4, s4, s1
	s_ashr_i32 s53, s19, 31
	s_mul_hi_u32 s3, s1, s4
	s_wait_alu 0xfffe
	s_cvt_u32_f32 s0, s0
	s_add_co_i32 s65, s1, s3
	s_mul_f32 s1, s2, 0x4f7ffffe
	s_sub_co_i32 s2, 0, s58
	s_sub_co_i32 s3, 0, s59
	s_wait_alu 0xfffe
	s_mul_i32 s2, s2, s0
	s_cvt_u32_f32 s1, s1
	s_wait_alu 0xfffe
	s_mul_hi_u32 s2, s0, s2
	s_ashr_i32 s56, s18, 31
	s_wait_alu 0xfffe
	s_add_co_i32 s67, s0, s2
	s_mul_i32 s3, s3, s1
	s_ashr_i32 s64, s8, 31
	s_wait_alu 0xfffe
	s_mul_hi_u32 s0, s1, s3
	s_ashr_i32 s66, s9, 31
	s_ashr_i32 s68, s10, 31
	s_wait_alu 0xfffe
	s_add_co_i32 s69, s1, s0
	s_branch .LBB26_4
.LBB26_2:                               ;   in Loop: Header=BB26_4 Depth=1
	s_or_b32 exec_lo, exec_lo, s70
	v_cvt_f16_f32_e32 v2, v16
.LBB26_3:                               ;   in Loop: Header=BB26_4 Depth=1
	v_mul_lo_u32 v3, v7, s7
	v_mul_lo_u32 v7, s28, v8
	;; [unrolled: 1-line block ×5, first 2 shown]
	v_add_co_u32 v0, vcc_lo, v0, s49
	s_wait_alu 0xfffd
	v_add_co_ci_u32_e64 v1, null, 0, v1, vcc_lo
	v_ashrrev_i32_e32 v4, 31, v3
	v_ashrrev_i32_e32 v8, 31, v7
	;; [unrolled: 1-line block ×5, first 2 shown]
	v_lshlrev_b64_e32 v[3:4], 1, v[3:4]
	v_lshlrev_b64_e32 v[7:8], 1, v[7:8]
	s_delay_alu instid0(VALU_DEP_4) | instskip(NEXT) | instid1(VALU_DEP_3)
	v_lshlrev_b64_e32 v[5:6], 1, v[5:6]
	v_add_co_u32 v13, vcc_lo, s42, v3
	s_wait_alu 0xfffd
	s_delay_alu instid0(VALU_DEP_4) | instskip(SKIP_1) | instid1(VALU_DEP_3)
	v_add_co_ci_u32_e64 v14, null, s43, v4, vcc_lo
	v_lshlrev_b64_e32 v[3:4], 1, v[9:10]
	v_add_co_u32 v7, vcc_lo, v13, v7
	s_wait_alu 0xfffd
	s_delay_alu instid0(VALU_DEP_3) | instskip(NEXT) | instid1(VALU_DEP_2)
	v_add_co_ci_u32_e64 v8, null, v14, v8, vcc_lo
	v_add_co_u32 v7, vcc_lo, v7, v3
	s_wait_alu 0xfffd
	s_delay_alu instid0(VALU_DEP_2) | instskip(SKIP_1) | instid1(VALU_DEP_3)
	v_add_co_ci_u32_e64 v8, null, v8, v4, vcc_lo
	v_lshlrev_b64_e32 v[3:4], 1, v[11:12]
	v_add_co_u32 v5, vcc_lo, v7, v5
	s_wait_alu 0xfffd
	s_delay_alu instid0(VALU_DEP_3) | instskip(SKIP_1) | instid1(VALU_DEP_3)
	v_add_co_ci_u32_e64 v6, null, v8, v6, vcc_lo
	v_cmp_le_i64_e32 vcc_lo, s[34:35], v[0:1]
	v_add_co_u32 v3, s0, v5, v3
	s_wait_alu 0xf1ff
	s_delay_alu instid0(VALU_DEP_3)
	v_add_co_ci_u32_e64 v4, null, v6, v4, s0
	s_or_b32 s37, vcc_lo, s37
	global_store_b16 v[3:4], v2, off
	s_wait_alu 0xfffe
	s_and_not1_b32 exec_lo, exec_lo, s37
	s_cbranch_execz .LBB26_19
.LBB26_4:                               ; =>This Loop Header: Depth=1
                                        ;     Child Loop BB26_7 Depth 2
                                        ;       Child Loop BB26_10 Depth 3
                                        ;         Child Loop BB26_13 Depth 4
                                        ;           Child Loop BB26_16 Depth 5
	v_sub_nc_u32_e32 v2, 0, v0
	s_delay_alu instid0(VALU_DEP_1) | instskip(NEXT) | instid1(VALU_DEP_1)
	v_max_i32_e32 v2, v0, v2
	v_mul_hi_u32 v3, v2, s60
	s_delay_alu instid0(VALU_DEP_1) | instskip(NEXT) | instid1(VALU_DEP_1)
	v_mul_lo_u32 v4, v3, s52
	v_sub_nc_u32_e32 v2, v2, v4
	v_add_nc_u32_e32 v4, 1, v3
	s_delay_alu instid0(VALU_DEP_2) | instskip(SKIP_2) | instid1(VALU_DEP_2)
	v_subrev_nc_u32_e32 v5, s52, v2
	v_cmp_le_u32_e32 vcc_lo, s52, v2
	s_wait_alu 0xfffd
	v_dual_cndmask_b32 v3, v3, v4 :: v_dual_cndmask_b32 v2, v2, v5
	v_ashrrev_i32_e32 v4, 31, v0
	s_delay_alu instid0(VALU_DEP_2) | instskip(NEXT) | instid1(VALU_DEP_3)
	v_add_nc_u32_e32 v5, 1, v3
	v_cmp_le_u32_e32 vcc_lo, s52, v2
	s_delay_alu instid0(VALU_DEP_3) | instskip(SKIP_1) | instid1(VALU_DEP_3)
	v_xor_b32_e32 v4, s51, v4
	s_wait_alu 0xfffd
	v_cndmask_b32_e32 v2, v3, v5, vcc_lo
	s_delay_alu instid0(VALU_DEP_1) | instskip(NEXT) | instid1(VALU_DEP_1)
	v_xor_b32_e32 v2, v2, v4
	v_sub_nc_u32_e32 v2, v2, v4
	s_delay_alu instid0(VALU_DEP_1) | instskip(NEXT) | instid1(VALU_DEP_1)
	v_sub_nc_u32_e32 v3, 0, v2
	v_max_i32_e32 v3, v2, v3
	s_delay_alu instid0(VALU_DEP_1) | instskip(NEXT) | instid1(VALU_DEP_1)
	v_mul_hi_u32 v4, v3, s61
	v_mul_lo_u32 v5, v4, s54
	s_delay_alu instid0(VALU_DEP_1) | instskip(SKIP_1) | instid1(VALU_DEP_2)
	v_sub_nc_u32_e32 v3, v3, v5
	v_add_nc_u32_e32 v5, 1, v4
	v_subrev_nc_u32_e32 v6, s54, v3
	v_cmp_le_u32_e32 vcc_lo, s54, v3
	s_wait_alu 0xfffd
	s_delay_alu instid0(VALU_DEP_2) | instskip(SKIP_1) | instid1(VALU_DEP_2)
	v_dual_cndmask_b32 v4, v4, v5 :: v_dual_cndmask_b32 v3, v3, v6
	v_ashrrev_i32_e32 v5, 31, v2
	v_add_nc_u32_e32 v6, 1, v4
	s_delay_alu instid0(VALU_DEP_3) | instskip(NEXT) | instid1(VALU_DEP_3)
	v_cmp_le_u32_e32 vcc_lo, s54, v3
	v_xor_b32_e32 v5, s53, v5
	s_wait_alu 0xfffd
	s_delay_alu instid0(VALU_DEP_3) | instskip(NEXT) | instid1(VALU_DEP_1)
	v_cndmask_b32_e32 v3, v4, v6, vcc_lo
	v_xor_b32_e32 v3, v3, v5
	s_delay_alu instid0(VALU_DEP_1) | instskip(NEXT) | instid1(VALU_DEP_1)
	v_sub_nc_u32_e32 v3, v3, v5
	v_sub_nc_u32_e32 v4, 0, v3
	s_delay_alu instid0(VALU_DEP_1) | instskip(NEXT) | instid1(VALU_DEP_1)
	v_max_i32_e32 v4, v3, v4
	v_mul_hi_u32 v5, v4, s62
	s_delay_alu instid0(VALU_DEP_1) | instskip(NEXT) | instid1(VALU_DEP_1)
	v_mul_lo_u32 v6, v5, s55
	v_sub_nc_u32_e32 v4, v4, v6
	v_add_nc_u32_e32 v6, 1, v5
	s_delay_alu instid0(VALU_DEP_2) | instskip(SKIP_2) | instid1(VALU_DEP_2)
	v_subrev_nc_u32_e32 v7, s55, v4
	v_cmp_le_u32_e32 vcc_lo, s55, v4
	s_wait_alu 0xfffd
	v_dual_cndmask_b32 v5, v5, v6 :: v_dual_cndmask_b32 v4, v4, v7
	v_ashrrev_i32_e32 v6, 31, v3
	s_delay_alu instid0(VALU_DEP_2) | instskip(NEXT) | instid1(VALU_DEP_3)
	v_add_nc_u32_e32 v7, 1, v5
	v_cmp_le_u32_e32 vcc_lo, s55, v4
	s_delay_alu instid0(VALU_DEP_3) | instskip(SKIP_1) | instid1(VALU_DEP_3)
	v_xor_b32_e32 v6, s56, v6
	s_wait_alu 0xfffd
	v_cndmask_b32_e32 v4, v5, v7, vcc_lo
	s_delay_alu instid0(VALU_DEP_1) | instskip(NEXT) | instid1(VALU_DEP_1)
	v_xor_b32_e32 v4, v4, v6
	v_sub_nc_u32_e32 v8, v4, v6
	s_delay_alu instid0(VALU_DEP_1) | instskip(NEXT) | instid1(VALU_DEP_1)
	v_sub_nc_u32_e32 v4, 0, v8
	v_max_i32_e32 v4, v8, v4
	s_delay_alu instid0(VALU_DEP_1) | instskip(NEXT) | instid1(VALU_DEP_1)
	v_mul_hi_u32 v5, v4, s63
	v_mul_lo_u32 v6, v5, s33
	s_delay_alu instid0(VALU_DEP_1) | instskip(SKIP_1) | instid1(VALU_DEP_2)
	v_sub_nc_u32_e32 v4, v4, v6
	v_add_nc_u32_e32 v6, 1, v5
	v_subrev_nc_u32_e32 v7, s33, v4
	v_cmp_le_u32_e32 vcc_lo, s33, v4
	s_wait_alu 0xfffd
	s_delay_alu instid0(VALU_DEP_2) | instskip(SKIP_1) | instid1(VALU_DEP_2)
	v_dual_cndmask_b32 v5, v5, v6 :: v_dual_cndmask_b32 v4, v4, v7
	v_ashrrev_i32_e32 v6, 31, v8
	v_add_nc_u32_e32 v7, 1, v5
	s_delay_alu instid0(VALU_DEP_3) | instskip(NEXT) | instid1(VALU_DEP_3)
	v_cmp_le_u32_e32 vcc_lo, s33, v4
	v_xor_b32_e32 v6, s16, v6
	s_wait_alu 0xfffd
	s_delay_alu instid0(VALU_DEP_3) | instskip(SKIP_2) | instid1(VALU_DEP_2)
	v_cndmask_b32_e32 v4, v5, v7, vcc_lo
	v_mul_lo_u32 v5, v3, s19
	s_and_not1_b32 vcc_lo, exec_lo, s50
	v_xor_b32_e32 v4, v4, v6
	s_delay_alu instid0(VALU_DEP_2) | instskip(NEXT) | instid1(VALU_DEP_2)
	v_sub_nc_u32_e32 v5, v2, v5
	v_sub_nc_u32_e32 v7, v4, v6
	v_mul_lo_u32 v4, v2, s6
	v_mul_lo_u32 v6, v8, s18
	s_delay_alu instid0(VALU_DEP_3) | instskip(NEXT) | instid1(VALU_DEP_3)
	v_mul_lo_u32 v9, v7, s17
	v_sub_nc_u32_e32 v4, v0, v4
	s_delay_alu instid0(VALU_DEP_3) | instskip(NEXT) | instid1(VALU_DEP_3)
	v_sub_nc_u32_e32 v6, v3, v6
	v_sub_nc_u32_e32 v8, v8, v9
	s_wait_alu 0xfffe
	s_cbranch_vccnz .LBB26_18
; %bb.5:                                ;   in Loop: Header=BB26_4 Depth=1
	s_delay_alu instid0(VALU_DEP_1)
	v_mul_lo_u32 v9, v8, s36
	v_mul_lo_u32 v2, s40, v7
	v_add_nc_u32_e32 v10, s13, v4
	v_add_nc_u32_e32 v11, s12, v5
	;; [unrolled: 1-line block ×3, first 2 shown]
	s_mov_b32 s70, 0
	v_mul_lo_u32 v14, s27, v9
	v_ashrrev_i32_e32 v3, 31, v2
	v_add_nc_u32_e32 v13, s36, v9
	s_delay_alu instid0(VALU_DEP_2) | instskip(NEXT) | instid1(VALU_DEP_4)
	v_lshlrev_b64_e32 v[2:3], 1, v[2:3]
	v_ashrrev_i32_e32 v15, 31, v14
	s_delay_alu instid0(VALU_DEP_1) | instskip(NEXT) | instid1(VALU_DEP_3)
	v_lshlrev_b64_e32 v[16:17], 1, v[14:15]
	v_add_co_u32 v14, vcc_lo, s38, v2
	s_wait_alu 0xfffd
	s_delay_alu instid0(VALU_DEP_4) | instskip(NEXT) | instid1(VALU_DEP_3)
	v_add_co_ci_u32_e64 v15, null, s39, v3, vcc_lo
	v_add_co_u32 v2, vcc_lo, s44, v16
	s_wait_alu 0xfffd
	v_add_co_ci_u32_e64 v3, null, s45, v17, vcc_lo
	v_mov_b32_e32 v16, 0
	s_branch .LBB26_7
.LBB26_6:                               ;   in Loop: Header=BB26_7 Depth=2
	v_add_nc_u32_e32 v9, 1, v9
	s_delay_alu instid0(VALU_DEP_1) | instskip(SKIP_1) | instid1(SALU_CYCLE_1)
	v_cmp_ge_i32_e32 vcc_lo, v9, v13
	s_or_b32 s70, vcc_lo, s70
	s_and_not1_b32 exec_lo, exec_lo, s70
	s_cbranch_execz .LBB26_2
.LBB26_7:                               ;   Parent Loop BB26_4 Depth=1
                                        ; =>  This Loop Header: Depth=2
                                        ;       Child Loop BB26_10 Depth 3
                                        ;         Child Loop BB26_13 Depth 4
                                        ;           Child Loop BB26_16 Depth 5
	s_and_not1_b32 vcc_lo, exec_lo, s46
	s_wait_alu 0xfffe
	s_cbranch_vccnz .LBB26_6
; %bb.8:                                ;   in Loop: Header=BB26_7 Depth=2
	v_mul_lo_u32 v17, s41, v9
	s_mov_b32 s71, 0
	s_delay_alu instid0(VALU_DEP_1) | instskip(NEXT) | instid1(VALU_DEP_1)
	v_ashrrev_i32_e32 v18, 31, v17
	v_lshlrev_b64_e32 v[17:18], 1, v[17:18]
	s_delay_alu instid0(VALU_DEP_1) | instskip(SKIP_1) | instid1(VALU_DEP_2)
	v_add_co_u32 v17, vcc_lo, v14, v17
	s_wait_alu 0xfffd
	v_add_co_ci_u32_e64 v18, null, v15, v18, vcc_lo
	s_branch .LBB26_10
.LBB26_9:                               ;   in Loop: Header=BB26_10 Depth=3
	s_add_co_i32 s71, s71, 1
	s_delay_alu instid0(SALU_CYCLE_1)
	s_cmp_eq_u32 s71, s24
	s_cbranch_scc1 .LBB26_6
.LBB26_10:                              ;   Parent Loop BB26_4 Depth=1
                                        ;     Parent Loop BB26_7 Depth=2
                                        ; =>    This Loop Header: Depth=3
                                        ;         Child Loop BB26_13 Depth 4
                                        ;           Child Loop BB26_16 Depth 5
	s_and_not1_b32 vcc_lo, exec_lo, s47
	s_wait_alu 0xfffe
	s_cbranch_vccnz .LBB26_9
; %bb.11:                               ;   in Loop: Header=BB26_10 Depth=3
	s_mul_i32 s0, s14, s71
	s_mov_b32 s72, 0
	s_wait_alu 0xfffe
	v_subrev_nc_u32_e32 v20, s0, v12
	s_delay_alu instid0(VALU_DEP_1) | instskip(NEXT) | instid1(VALU_DEP_1)
	v_sub_nc_u32_e32 v19, 0, v20
	v_max_i32_e32 v19, v20, v19
	s_delay_alu instid0(VALU_DEP_1) | instskip(NEXT) | instid1(VALU_DEP_1)
	v_mul_hi_u32 v21, v19, s65
	v_mul_lo_u32 v22, v21, s57
	s_delay_alu instid0(VALU_DEP_1) | instskip(NEXT) | instid1(VALU_DEP_1)
	v_sub_nc_u32_e32 v19, v19, v22
	v_subrev_nc_u32_e32 v23, s57, v19
	v_cmp_le_u32_e32 vcc_lo, s57, v19
	s_wait_alu 0xfffd
	s_delay_alu instid0(VALU_DEP_2) | instskip(NEXT) | instid1(VALU_DEP_1)
	v_dual_cndmask_b32 v19, v19, v23 :: v_dual_add_nc_u32 v22, 1, v21
	v_cndmask_b32_e32 v21, v21, v22, vcc_lo
	v_ashrrev_i32_e32 v22, 31, v20
	s_delay_alu instid0(VALU_DEP_3) | instskip(NEXT) | instid1(VALU_DEP_3)
	v_cmp_le_u32_e32 vcc_lo, s57, v19
	v_add_nc_u32_e32 v23, 1, v21
	s_delay_alu instid0(VALU_DEP_3) | instskip(SKIP_1) | instid1(VALU_DEP_2)
	v_xor_b32_e32 v22, s64, v22
	s_wait_alu 0xfffd
	v_cndmask_b32_e32 v19, v21, v23, vcc_lo
	s_delay_alu instid0(VALU_DEP_1) | instskip(NEXT) | instid1(VALU_DEP_1)
	v_xor_b32_e32 v19, v19, v22
	v_sub_nc_u32_e32 v21, v19, v22
	s_delay_alu instid0(VALU_DEP_1) | instskip(SKIP_3) | instid1(VALU_DEP_4)
	v_mul_lo_u32 v22, v21, s8
	v_mul_lo_u32 v19, v21, s22
	v_cmp_lt_i32_e64 s0, -1, v21
	v_cmp_gt_i32_e64 s1, s21, v21
	v_cmp_eq_u32_e64 s2, v22, v20
	s_branch .LBB26_13
.LBB26_12:                              ;   in Loop: Header=BB26_13 Depth=4
	s_add_co_i32 s72, s72, 1
	s_delay_alu instid0(SALU_CYCLE_1)
	s_cmp_eq_u32 s72, s25
	s_cbranch_scc1 .LBB26_9
.LBB26_13:                              ;   Parent Loop BB26_4 Depth=1
                                        ;     Parent Loop BB26_7 Depth=2
                                        ;       Parent Loop BB26_10 Depth=3
                                        ; =>      This Loop Header: Depth=4
                                        ;           Child Loop BB26_16 Depth 5
	s_and_not1_b32 vcc_lo, exec_lo, s48
	s_wait_alu 0xfffe
	s_cbranch_vccnz .LBB26_12
; %bb.14:                               ;   in Loop: Header=BB26_13 Depth=4
	s_mul_i32 s3, s15, s72
	s_mov_b32 s74, s26
	s_wait_alu 0xfffe
	v_subrev_nc_u32_e32 v21, s3, v11
	s_delay_alu instid0(VALU_DEP_1) | instskip(NEXT) | instid1(VALU_DEP_1)
	v_sub_nc_u32_e32 v20, 0, v21
	v_max_i32_e32 v20, v21, v20
	s_delay_alu instid0(VALU_DEP_1) | instskip(NEXT) | instid1(VALU_DEP_1)
	v_mul_hi_u32 v22, v20, s67
	v_mul_lo_u32 v23, v22, s58
	s_delay_alu instid0(VALU_DEP_1) | instskip(NEXT) | instid1(VALU_DEP_1)
	v_sub_nc_u32_e32 v20, v20, v23
	v_subrev_nc_u32_e32 v24, s58, v20
	v_cmp_le_u32_e32 vcc_lo, s58, v20
	s_wait_alu 0xfffd
	s_delay_alu instid0(VALU_DEP_2) | instskip(NEXT) | instid1(VALU_DEP_1)
	v_dual_cndmask_b32 v20, v20, v24 :: v_dual_add_nc_u32 v23, 1, v22
	v_cndmask_b32_e32 v22, v22, v23, vcc_lo
	v_ashrrev_i32_e32 v23, 31, v21
	s_delay_alu instid0(VALU_DEP_3) | instskip(NEXT) | instid1(VALU_DEP_3)
	v_cmp_le_u32_e32 vcc_lo, s58, v20
	v_add_nc_u32_e32 v24, 1, v22
	s_delay_alu instid0(VALU_DEP_3) | instskip(SKIP_1) | instid1(VALU_DEP_2)
	v_xor_b32_e32 v23, s66, v23
	s_wait_alu 0xfffd
	v_cndmask_b32_e32 v20, v22, v24, vcc_lo
	s_delay_alu instid0(VALU_DEP_1) | instskip(NEXT) | instid1(VALU_DEP_1)
	v_xor_b32_e32 v20, v20, v23
	v_sub_nc_u32_e32 v22, v20, v23
	s_delay_alu instid0(VALU_DEP_1) | instskip(SKIP_3) | instid1(VALU_DEP_3)
	v_mul_lo_u32 v23, v22, s9
	v_add_nc_u32_e32 v20, v22, v19
	v_cmp_gt_i32_e64 s3, s22, v22
	v_cmp_lt_i32_e32 vcc_lo, -1, v22
	v_mul_lo_u32 v20, v20, s23
	v_cmp_eq_u32_e64 s4, v23, v21
	v_mov_b32_e32 v21, v10
	s_and_b32 s73, s2, s4
	s_branch .LBB26_16
.LBB26_15:                              ;   in Loop: Header=BB26_16 Depth=5
	s_wait_alu 0xfffe
	s_or_b32 exec_lo, exec_lo, s5
	v_mul_lo_u32 v23, v23, s10
	s_wait_loadcnt 0x0
	v_fma_mix_f32 v22, v24, v22, v16 op_sel_hi:[0,1,0]
	v_add_co_u32 v2, s5, v2, 2
	s_wait_alu 0xf1ff
	v_add_co_ci_u32_e64 v3, null, 0, v3, s5
	s_add_co_i32 s74, s74, -1
	v_cmp_eq_u32_e64 s4, v21, v23
	v_subrev_nc_u32_e32 v21, s20, v21
	s_and_b32 s4, s73, s4
	s_cmp_eq_u32 s74, 0
	s_wait_alu 0xfffe
	v_cndmask_b32_e64 v16, v16, v22, s4
	s_cbranch_scc1 .LBB26_12
.LBB26_16:                              ;   Parent Loop BB26_4 Depth=1
                                        ;     Parent Loop BB26_7 Depth=2
                                        ;       Parent Loop BB26_10 Depth=3
                                        ;         Parent Loop BB26_13 Depth=4
                                        ; =>        This Inner Loop Header: Depth=5
	global_load_u16 v22, v[2:3], off
	v_sub_nc_u32_e32 v23, 0, v21
	s_delay_alu instid0(VALU_DEP_1) | instskip(NEXT) | instid1(VALU_DEP_1)
	v_max_i32_e32 v23, v21, v23
	v_mul_hi_u32 v24, v23, s69
	s_delay_alu instid0(VALU_DEP_1) | instskip(NEXT) | instid1(VALU_DEP_1)
	v_mul_lo_u32 v25, v24, s59
	v_sub_nc_u32_e32 v23, v23, v25
	v_add_nc_u32_e32 v25, 1, v24
	s_delay_alu instid0(VALU_DEP_2) | instskip(SKIP_2) | instid1(VALU_DEP_1)
	v_subrev_nc_u32_e32 v26, s59, v23
	v_cmp_le_u32_e64 s4, s59, v23
	s_wait_alu 0xf1ff
	v_cndmask_b32_e64 v24, v24, v25, s4
	s_delay_alu instid0(VALU_DEP_3) | instskip(SKIP_1) | instid1(VALU_DEP_3)
	v_cndmask_b32_e64 v23, v23, v26, s4
	v_ashrrev_i32_e32 v25, 31, v21
	v_add_nc_u32_e32 v26, 1, v24
	s_delay_alu instid0(VALU_DEP_3) | instskip(NEXT) | instid1(VALU_DEP_3)
	v_cmp_le_u32_e64 s4, s59, v23
	v_xor_b32_e32 v25, s68, v25
	s_wait_alu 0xf1ff
	s_delay_alu instid0(VALU_DEP_2) | instskip(SKIP_1) | instid1(VALU_DEP_2)
	v_cndmask_b32_e64 v23, v24, v26, s4
	v_mov_b32_e32 v24, 0
	v_xor_b32_e32 v23, v23, v25
	s_delay_alu instid0(VALU_DEP_1) | instskip(NEXT) | instid1(VALU_DEP_1)
	v_sub_nc_u32_e32 v23, v23, v25
	v_cmp_lt_i32_e64 s4, -1, v23
	v_cmp_gt_i32_e64 s5, s23, v23
	s_and_b32 s4, s4, vcc_lo
	s_wait_alu 0xfffe
	s_and_b32 s4, s4, s0
	s_wait_alu 0xfffe
	s_and_b32 s4, s5, s4
	;; [unrolled: 2-line block ×4, first 2 shown]
	s_wait_alu 0xfffe
	s_and_saveexec_b32 s5, s4
	s_cbranch_execz .LBB26_15
; %bb.17:                               ;   in Loop: Header=BB26_16 Depth=5
	v_add_nc_u32_e32 v24, v23, v20
	s_delay_alu instid0(VALU_DEP_1) | instskip(NEXT) | instid1(VALU_DEP_1)
	v_ashrrev_i32_e32 v25, 31, v24
	v_lshlrev_b64_e32 v[24:25], 1, v[24:25]
	s_delay_alu instid0(VALU_DEP_1) | instskip(SKIP_1) | instid1(VALU_DEP_2)
	v_add_co_u32 v24, s4, v17, v24
	s_wait_alu 0xf1ff
	v_add_co_ci_u32_e64 v25, null, v18, v25, s4
	global_load_u16 v24, v[24:25], off
	s_wait_loadcnt 0x0
	v_cvt_f32_f16_e32 v24, v24
	s_branch .LBB26_15
.LBB26_18:                              ;   in Loop: Header=BB26_4 Depth=1
	v_mov_b32_e32 v2, 0
	s_branch .LBB26_3
.LBB26_19:
	s_endpgm
	.section	.rodata,"a",@progbits
	.p2align	6, 0x0
	.amdhsa_kernel _ZN2at6native12_GLOBAL__N_143conv_depthwise3d_cuda_backward_input_kernelIN3c104HalfEfLin1ELin1ELin1ELin1ELin1ELin1ELin1ELin1ELin1EEEvN5torch10headeronly6detail27GenericPackedTensorAccessorINS7_14TensorAccessorINS3_8ArrayRefIlEEKT_Lm4ENS6_16DefaultPtrTraitsEiEENS_6detail16IndexBoundsCheckILm5EiEESD_Lm5ESE_iEENS8_INS9_ISB_SC_Lm4ESE_iEESI_SC_Lm5ESE_iEESJ_iiiiiiiii
		.amdhsa_group_segment_fixed_size 0
		.amdhsa_private_segment_fixed_size 0
		.amdhsa_kernarg_size 440
		.amdhsa_user_sgpr_count 2
		.amdhsa_user_sgpr_dispatch_ptr 0
		.amdhsa_user_sgpr_queue_ptr 0
		.amdhsa_user_sgpr_kernarg_segment_ptr 1
		.amdhsa_user_sgpr_dispatch_id 0
		.amdhsa_user_sgpr_private_segment_size 0
		.amdhsa_wavefront_size32 1
		.amdhsa_uses_dynamic_stack 0
		.amdhsa_enable_private_segment 0
		.amdhsa_system_sgpr_workgroup_id_x 1
		.amdhsa_system_sgpr_workgroup_id_y 0
		.amdhsa_system_sgpr_workgroup_id_z 0
		.amdhsa_system_sgpr_workgroup_info 0
		.amdhsa_system_vgpr_workitem_id 0
		.amdhsa_next_free_vgpr 27
		.amdhsa_next_free_sgpr 75
		.amdhsa_reserve_vcc 1
		.amdhsa_float_round_mode_32 0
		.amdhsa_float_round_mode_16_64 0
		.amdhsa_float_denorm_mode_32 3
		.amdhsa_float_denorm_mode_16_64 3
		.amdhsa_fp16_overflow 0
		.amdhsa_workgroup_processor_mode 1
		.amdhsa_memory_ordered 1
		.amdhsa_forward_progress 1
		.amdhsa_inst_pref_size 20
		.amdhsa_round_robin_scheduling 0
		.amdhsa_exception_fp_ieee_invalid_op 0
		.amdhsa_exception_fp_denorm_src 0
		.amdhsa_exception_fp_ieee_div_zero 0
		.amdhsa_exception_fp_ieee_overflow 0
		.amdhsa_exception_fp_ieee_underflow 0
		.amdhsa_exception_fp_ieee_inexact 0
		.amdhsa_exception_int_div_zero 0
	.end_amdhsa_kernel
	.section	.text._ZN2at6native12_GLOBAL__N_143conv_depthwise3d_cuda_backward_input_kernelIN3c104HalfEfLin1ELin1ELin1ELin1ELin1ELin1ELin1ELin1ELin1EEEvN5torch10headeronly6detail27GenericPackedTensorAccessorINS7_14TensorAccessorINS3_8ArrayRefIlEEKT_Lm4ENS6_16DefaultPtrTraitsEiEENS_6detail16IndexBoundsCheckILm5EiEESD_Lm5ESE_iEENS8_INS9_ISB_SC_Lm4ESE_iEESI_SC_Lm5ESE_iEESJ_iiiiiiiii,"axG",@progbits,_ZN2at6native12_GLOBAL__N_143conv_depthwise3d_cuda_backward_input_kernelIN3c104HalfEfLin1ELin1ELin1ELin1ELin1ELin1ELin1ELin1ELin1EEEvN5torch10headeronly6detail27GenericPackedTensorAccessorINS7_14TensorAccessorINS3_8ArrayRefIlEEKT_Lm4ENS6_16DefaultPtrTraitsEiEENS_6detail16IndexBoundsCheckILm5EiEESD_Lm5ESE_iEENS8_INS9_ISB_SC_Lm4ESE_iEESI_SC_Lm5ESE_iEESJ_iiiiiiiii,comdat
.Lfunc_end26:
	.size	_ZN2at6native12_GLOBAL__N_143conv_depthwise3d_cuda_backward_input_kernelIN3c104HalfEfLin1ELin1ELin1ELin1ELin1ELin1ELin1ELin1ELin1EEEvN5torch10headeronly6detail27GenericPackedTensorAccessorINS7_14TensorAccessorINS3_8ArrayRefIlEEKT_Lm4ENS6_16DefaultPtrTraitsEiEENS_6detail16IndexBoundsCheckILm5EiEESD_Lm5ESE_iEENS8_INS9_ISB_SC_Lm4ESE_iEESI_SC_Lm5ESE_iEESJ_iiiiiiiii, .Lfunc_end26-_ZN2at6native12_GLOBAL__N_143conv_depthwise3d_cuda_backward_input_kernelIN3c104HalfEfLin1ELin1ELin1ELin1ELin1ELin1ELin1ELin1ELin1EEEvN5torch10headeronly6detail27GenericPackedTensorAccessorINS7_14TensorAccessorINS3_8ArrayRefIlEEKT_Lm4ENS6_16DefaultPtrTraitsEiEENS_6detail16IndexBoundsCheckILm5EiEESD_Lm5ESE_iEENS8_INS9_ISB_SC_Lm4ESE_iEESI_SC_Lm5ESE_iEESJ_iiiiiiiii
                                        ; -- End function
	.set _ZN2at6native12_GLOBAL__N_143conv_depthwise3d_cuda_backward_input_kernelIN3c104HalfEfLin1ELin1ELin1ELin1ELin1ELin1ELin1ELin1ELin1EEEvN5torch10headeronly6detail27GenericPackedTensorAccessorINS7_14TensorAccessorINS3_8ArrayRefIlEEKT_Lm4ENS6_16DefaultPtrTraitsEiEENS_6detail16IndexBoundsCheckILm5EiEESD_Lm5ESE_iEENS8_INS9_ISB_SC_Lm4ESE_iEESI_SC_Lm5ESE_iEESJ_iiiiiiiii.num_vgpr, 27
	.set _ZN2at6native12_GLOBAL__N_143conv_depthwise3d_cuda_backward_input_kernelIN3c104HalfEfLin1ELin1ELin1ELin1ELin1ELin1ELin1ELin1ELin1EEEvN5torch10headeronly6detail27GenericPackedTensorAccessorINS7_14TensorAccessorINS3_8ArrayRefIlEEKT_Lm4ENS6_16DefaultPtrTraitsEiEENS_6detail16IndexBoundsCheckILm5EiEESD_Lm5ESE_iEENS8_INS9_ISB_SC_Lm4ESE_iEESI_SC_Lm5ESE_iEESJ_iiiiiiiii.num_agpr, 0
	.set _ZN2at6native12_GLOBAL__N_143conv_depthwise3d_cuda_backward_input_kernelIN3c104HalfEfLin1ELin1ELin1ELin1ELin1ELin1ELin1ELin1ELin1EEEvN5torch10headeronly6detail27GenericPackedTensorAccessorINS7_14TensorAccessorINS3_8ArrayRefIlEEKT_Lm4ENS6_16DefaultPtrTraitsEiEENS_6detail16IndexBoundsCheckILm5EiEESD_Lm5ESE_iEENS8_INS9_ISB_SC_Lm4ESE_iEESI_SC_Lm5ESE_iEESJ_iiiiiiiii.numbered_sgpr, 75
	.set _ZN2at6native12_GLOBAL__N_143conv_depthwise3d_cuda_backward_input_kernelIN3c104HalfEfLin1ELin1ELin1ELin1ELin1ELin1ELin1ELin1ELin1EEEvN5torch10headeronly6detail27GenericPackedTensorAccessorINS7_14TensorAccessorINS3_8ArrayRefIlEEKT_Lm4ENS6_16DefaultPtrTraitsEiEENS_6detail16IndexBoundsCheckILm5EiEESD_Lm5ESE_iEENS8_INS9_ISB_SC_Lm4ESE_iEESI_SC_Lm5ESE_iEESJ_iiiiiiiii.num_named_barrier, 0
	.set _ZN2at6native12_GLOBAL__N_143conv_depthwise3d_cuda_backward_input_kernelIN3c104HalfEfLin1ELin1ELin1ELin1ELin1ELin1ELin1ELin1ELin1EEEvN5torch10headeronly6detail27GenericPackedTensorAccessorINS7_14TensorAccessorINS3_8ArrayRefIlEEKT_Lm4ENS6_16DefaultPtrTraitsEiEENS_6detail16IndexBoundsCheckILm5EiEESD_Lm5ESE_iEENS8_INS9_ISB_SC_Lm4ESE_iEESI_SC_Lm5ESE_iEESJ_iiiiiiiii.private_seg_size, 0
	.set _ZN2at6native12_GLOBAL__N_143conv_depthwise3d_cuda_backward_input_kernelIN3c104HalfEfLin1ELin1ELin1ELin1ELin1ELin1ELin1ELin1ELin1EEEvN5torch10headeronly6detail27GenericPackedTensorAccessorINS7_14TensorAccessorINS3_8ArrayRefIlEEKT_Lm4ENS6_16DefaultPtrTraitsEiEENS_6detail16IndexBoundsCheckILm5EiEESD_Lm5ESE_iEENS8_INS9_ISB_SC_Lm4ESE_iEESI_SC_Lm5ESE_iEESJ_iiiiiiiii.uses_vcc, 1
	.set _ZN2at6native12_GLOBAL__N_143conv_depthwise3d_cuda_backward_input_kernelIN3c104HalfEfLin1ELin1ELin1ELin1ELin1ELin1ELin1ELin1ELin1EEEvN5torch10headeronly6detail27GenericPackedTensorAccessorINS7_14TensorAccessorINS3_8ArrayRefIlEEKT_Lm4ENS6_16DefaultPtrTraitsEiEENS_6detail16IndexBoundsCheckILm5EiEESD_Lm5ESE_iEENS8_INS9_ISB_SC_Lm4ESE_iEESI_SC_Lm5ESE_iEESJ_iiiiiiiii.uses_flat_scratch, 0
	.set _ZN2at6native12_GLOBAL__N_143conv_depthwise3d_cuda_backward_input_kernelIN3c104HalfEfLin1ELin1ELin1ELin1ELin1ELin1ELin1ELin1ELin1EEEvN5torch10headeronly6detail27GenericPackedTensorAccessorINS7_14TensorAccessorINS3_8ArrayRefIlEEKT_Lm4ENS6_16DefaultPtrTraitsEiEENS_6detail16IndexBoundsCheckILm5EiEESD_Lm5ESE_iEENS8_INS9_ISB_SC_Lm4ESE_iEESI_SC_Lm5ESE_iEESJ_iiiiiiiii.has_dyn_sized_stack, 0
	.set _ZN2at6native12_GLOBAL__N_143conv_depthwise3d_cuda_backward_input_kernelIN3c104HalfEfLin1ELin1ELin1ELin1ELin1ELin1ELin1ELin1ELin1EEEvN5torch10headeronly6detail27GenericPackedTensorAccessorINS7_14TensorAccessorINS3_8ArrayRefIlEEKT_Lm4ENS6_16DefaultPtrTraitsEiEENS_6detail16IndexBoundsCheckILm5EiEESD_Lm5ESE_iEENS8_INS9_ISB_SC_Lm4ESE_iEESI_SC_Lm5ESE_iEESJ_iiiiiiiii.has_recursion, 0
	.set _ZN2at6native12_GLOBAL__N_143conv_depthwise3d_cuda_backward_input_kernelIN3c104HalfEfLin1ELin1ELin1ELin1ELin1ELin1ELin1ELin1ELin1EEEvN5torch10headeronly6detail27GenericPackedTensorAccessorINS7_14TensorAccessorINS3_8ArrayRefIlEEKT_Lm4ENS6_16DefaultPtrTraitsEiEENS_6detail16IndexBoundsCheckILm5EiEESD_Lm5ESE_iEENS8_INS9_ISB_SC_Lm4ESE_iEESI_SC_Lm5ESE_iEESJ_iiiiiiiii.has_indirect_call, 0
	.section	.AMDGPU.csdata,"",@progbits
; Kernel info:
; codeLenInByte = 2520
; TotalNumSgprs: 77
; NumVgprs: 27
; ScratchSize: 0
; MemoryBound: 0
; FloatMode: 240
; IeeeMode: 1
; LDSByteSize: 0 bytes/workgroup (compile time only)
; SGPRBlocks: 0
; VGPRBlocks: 3
; NumSGPRsForWavesPerEU: 77
; NumVGPRsForWavesPerEU: 27
; Occupancy: 16
; WaveLimiterHint : 0
; COMPUTE_PGM_RSRC2:SCRATCH_EN: 0
; COMPUTE_PGM_RSRC2:USER_SGPR: 2
; COMPUTE_PGM_RSRC2:TRAP_HANDLER: 0
; COMPUTE_PGM_RSRC2:TGID_X_EN: 1
; COMPUTE_PGM_RSRC2:TGID_Y_EN: 0
; COMPUTE_PGM_RSRC2:TGID_Z_EN: 0
; COMPUTE_PGM_RSRC2:TIDIG_COMP_CNT: 0
	.section	.text._ZN2at6native12_GLOBAL__N_143conv_depthwise3d_cuda_backward_input_kernelIN3c108BFloat16EfLi3ELi3ELi3ELi1ELi1ELi1ELi1ELi1ELi1EEEvN5torch10headeronly6detail27GenericPackedTensorAccessorINS7_14TensorAccessorINS3_8ArrayRefIlEEKT_Lm4ENS6_16DefaultPtrTraitsEiEENS_6detail16IndexBoundsCheckILm5EiEESD_Lm5ESE_iEENS8_INS9_ISB_SC_Lm4ESE_iEESI_SC_Lm5ESE_iEESJ_iiiiiiiii,"axG",@progbits,_ZN2at6native12_GLOBAL__N_143conv_depthwise3d_cuda_backward_input_kernelIN3c108BFloat16EfLi3ELi3ELi3ELi1ELi1ELi1ELi1ELi1ELi1EEEvN5torch10headeronly6detail27GenericPackedTensorAccessorINS7_14TensorAccessorINS3_8ArrayRefIlEEKT_Lm4ENS6_16DefaultPtrTraitsEiEENS_6detail16IndexBoundsCheckILm5EiEESD_Lm5ESE_iEENS8_INS9_ISB_SC_Lm4ESE_iEESI_SC_Lm5ESE_iEESJ_iiiiiiiii,comdat
	.globl	_ZN2at6native12_GLOBAL__N_143conv_depthwise3d_cuda_backward_input_kernelIN3c108BFloat16EfLi3ELi3ELi3ELi1ELi1ELi1ELi1ELi1ELi1EEEvN5torch10headeronly6detail27GenericPackedTensorAccessorINS7_14TensorAccessorINS3_8ArrayRefIlEEKT_Lm4ENS6_16DefaultPtrTraitsEiEENS_6detail16IndexBoundsCheckILm5EiEESD_Lm5ESE_iEENS8_INS9_ISB_SC_Lm4ESE_iEESI_SC_Lm5ESE_iEESJ_iiiiiiiii ; -- Begin function _ZN2at6native12_GLOBAL__N_143conv_depthwise3d_cuda_backward_input_kernelIN3c108BFloat16EfLi3ELi3ELi3ELi1ELi1ELi1ELi1ELi1ELi1EEEvN5torch10headeronly6detail27GenericPackedTensorAccessorINS7_14TensorAccessorINS3_8ArrayRefIlEEKT_Lm4ENS6_16DefaultPtrTraitsEiEENS_6detail16IndexBoundsCheckILm5EiEESD_Lm5ESE_iEENS8_INS9_ISB_SC_Lm4ESE_iEESI_SC_Lm5ESE_iEESJ_iiiiiiiii
	.p2align	8
	.type	_ZN2at6native12_GLOBAL__N_143conv_depthwise3d_cuda_backward_input_kernelIN3c108BFloat16EfLi3ELi3ELi3ELi1ELi1ELi1ELi1ELi1ELi1EEEvN5torch10headeronly6detail27GenericPackedTensorAccessorINS7_14TensorAccessorINS3_8ArrayRefIlEEKT_Lm4ENS6_16DefaultPtrTraitsEiEENS_6detail16IndexBoundsCheckILm5EiEESD_Lm5ESE_iEENS8_INS9_ISB_SC_Lm4ESE_iEESI_SC_Lm5ESE_iEESJ_iiiiiiiii,@function
_ZN2at6native12_GLOBAL__N_143conv_depthwise3d_cuda_backward_input_kernelIN3c108BFloat16EfLi3ELi3ELi3ELi1ELi1ELi1ELi1ELi1ELi1EEEvN5torch10headeronly6detail27GenericPackedTensorAccessorINS7_14TensorAccessorINS3_8ArrayRefIlEEKT_Lm4ENS6_16DefaultPtrTraitsEiEENS_6detail16IndexBoundsCheckILm5EiEESD_Lm5ESE_iEENS8_INS9_ISB_SC_Lm4ESE_iEESI_SC_Lm5ESE_iEESJ_iiiiiiiii: ; @_ZN2at6native12_GLOBAL__N_143conv_depthwise3d_cuda_backward_input_kernelIN3c108BFloat16EfLi3ELi3ELi3ELi1ELi1ELi1ELi1ELi1ELi1EEEvN5torch10headeronly6detail27GenericPackedTensorAccessorINS7_14TensorAccessorINS3_8ArrayRefIlEEKT_Lm4ENS6_16DefaultPtrTraitsEiEENS_6detail16IndexBoundsCheckILm5EiEESD_Lm5ESE_iEENS8_INS9_ISB_SC_Lm4ESE_iEESI_SC_Lm5ESE_iEESJ_iiiiiiiii
; %bb.0:
	s_clause 0x2
	s_load_b128 s[4:7], s[0:1], 0x38
	s_load_b32 s2, s[0:1], 0xc4
	s_load_b64 s[20:21], s[0:1], 0x48
	v_mov_b32_e32 v1, 0
	s_wait_kmcnt 0x0
	s_abs_i32 s33, s5
	s_and_b32 s2, s2, 0xffff
	s_cvt_f32_u32 s3, s33
	v_mad_co_u64_u32 v[0:1], null, s2, ttmp9, v[0:1]
	s_mul_i32 s22, s21, s4
	s_delay_alu instid0(SALU_CYCLE_1) | instskip(SKIP_2) | instid1(TRANS32_DEP_1)
	v_rcp_iflag_f32_e32 v2, s3
	s_ashr_i32 s23, s22, 31
	s_mov_b32 s4, exec_lo
	v_readfirstlane_b32 s3, v2
	v_cmpx_gt_i64_e64 s[22:23], v[0:1]
	s_cbranch_execz .LBB27_62
; %bb.1:
	s_clause 0x1
	s_load_b128 s[8:11], s[0:1], 0xc
	s_load_b64 s[24:25], s[0:1], 0x0
	s_mul_f32 s3, s3, 0x4f7ffffe
	s_sub_co_i32 s4, 0, s33
	s_mov_b32 s19, 0
	s_ashr_i32 s34, s5, 31
	s_wait_alu 0xfffe
	s_cvt_u32_f32 s3, s3
	s_mov_b32 s13, s19
	v_readfirstlane_b32 s26, v2
	s_add_nc_u64 s[14:15], s[0:1], 0xb8
	s_wait_alu 0xfffe
	s_mul_i32 s12, s4, s3
	s_delay_alu instid0(SALU_CYCLE_1) | instskip(NEXT) | instid1(SALU_CYCLE_1)
	s_mul_hi_u32 s12, s3, s12
	s_add_co_i32 s12, s3, s12
	s_wait_kmcnt 0x0
	s_abs_i32 s18, s8
	s_ashr_i32 s3, s8, 31
	s_mul_u64 s[12:13], s[18:19], s[12:13]
	s_wait_alu 0xfffe
	s_xor_b32 s3, s3, s34
	s_mul_i32 s8, s13, s33
	s_add_co_i32 s12, s13, 1
	s_sub_co_i32 s8, s18, s8
	s_delay_alu instid0(SALU_CYCLE_1)
	s_sub_co_i32 s16, s8, s33
	s_cmp_ge_u32 s8, s33
	s_cselect_b32 s12, s12, s13
	s_cselect_b32 s8, s16, s8
	s_add_co_i32 s13, s12, 1
	s_cmp_ge_u32 s8, s33
	s_clause 0x1
	s_load_b96 s[16:18], s[0:1], 0x9c
	s_load_b32 s8, s[0:1], 0x7c
	s_cselect_b32 s12, s13, s12
	s_load_b32 s40, s[14:15], 0x0
	s_xor_b32 s12, s12, s3
	s_mul_f32 s13, s26, 0x4f7ffffe
	s_sub_co_i32 s35, s12, s3
	s_clause 0x1
	s_load_b64 s[26:27], s[0:1], 0x1c
	s_load_b64 s[28:29], s[0:1], 0x30
	s_cmp_gt_i32 s35, 0
	s_cvt_u32_f32 s3, s13
	s_cselect_b32 s36, -1, 0
	s_abs_i32 s37, s20
	s_abs_i32 s38, s7
	;; [unrolled: 1-line block ×3, first 2 shown]
	s_cvt_f32_u32 s12, s37
	s_cvt_f32_u32 s13, s38
	;; [unrolled: 1-line block ×3, first 2 shown]
	s_wait_alu 0xfffe
	s_mul_i32 s4, s4, s3
	v_rcp_iflag_f32_e32 v2, s12
	v_rcp_iflag_f32_e32 v3, s13
	;; [unrolled: 1-line block ×3, first 2 shown]
	s_clause 0x1
	s_load_b64 s[30:31], s[0:1], 0x60
	s_load_b128 s[12:15], s[0:1], 0x50
	s_mul_hi_u32 s0, s3, s4
	s_wait_kmcnt 0x0
	s_mul_i32 s40, s40, s2
	s_wait_alu 0xfffe
	s_add_co_i32 s44, s3, s0
	s_sub_co_i32 s3, 0, s37
	s_sub_co_i32 s4, 0, s38
	;; [unrolled: 1-line block ×3, first 2 shown]
	v_readfirstlane_b32 s0, v2
	v_readfirstlane_b32 s1, v3
	;; [unrolled: 1-line block ×3, first 2 shown]
	s_ashr_i32 s41, s20, 31
	s_ashr_i32 s42, s7, 31
	s_mul_f32 s0, s0, 0x4f7ffffe
	s_mul_f32 s1, s1, 0x4f7ffffe
	;; [unrolled: 1-line block ×3, first 2 shown]
	s_ashr_i32 s43, s6, 31
	s_wait_alu 0xfffe
	s_cvt_u32_f32 s0, s0
	s_cvt_u32_f32 s1, s1
	;; [unrolled: 1-line block ×3, first 2 shown]
	s_mul_i32 s48, s27, s35
	s_wait_alu 0xfffe
	s_mul_i32 s3, s3, s0
	s_mul_i32 s4, s4, s1
	;; [unrolled: 1-line block ×3, first 2 shown]
	s_wait_alu 0xfffe
	s_mul_hi_u32 s3, s0, s3
	s_mul_hi_u32 s4, s1, s4
	;; [unrolled: 1-line block ×3, first 2 shown]
	s_wait_alu 0xfffe
	s_add_co_i32 s45, s0, s3
	s_add_co_i32 s46, s1, s4
	;; [unrolled: 1-line block ×3, first 2 shown]
	s_branch .LBB27_4
.LBB27_2:                               ;   in Loop: Header=BB27_4 Depth=1
	s_or_b32 exec_lo, exec_lo, s71
.LBB27_3:                               ;   in Loop: Header=BB27_4 Depth=1
	v_mul_lo_u32 v2, v63, s21
	v_mul_lo_u32 v4, s12, v64
	s_delay_alu instid0(VALU_DEP_3) | instskip(SKIP_3) | instid1(VALU_DEP_4)
	v_bfe_u32 v5, v69, 16, 1
	v_mul_lo_u32 v6, s13, v62
	v_mul_lo_u32 v8, s14, v61
	;; [unrolled: 1-line block ×3, first 2 shown]
	v_add3_u32 v12, v69, v5, 0x7fff
	v_ashrrev_i32_e32 v3, 31, v2
	v_ashrrev_i32_e32 v5, 31, v4
	;; [unrolled: 1-line block ×3, first 2 shown]
	s_delay_alu instid0(VALU_DEP_4) | instskip(NEXT) | instid1(VALU_DEP_4)
	v_lshrrev_b32_e32 v12, 16, v12
	v_lshlrev_b64_e32 v[2:3], 1, v[2:3]
	s_delay_alu instid0(VALU_DEP_4) | instskip(SKIP_2) | instid1(VALU_DEP_4)
	v_lshlrev_b64_e32 v[4:5], 1, v[4:5]
	v_ashrrev_i32_e32 v9, 31, v8
	v_ashrrev_i32_e32 v11, 31, v10
	v_add_co_u32 v13, vcc_lo, s28, v2
	s_wait_alu 0xfffd
	v_add_co_ci_u32_e64 v14, null, s29, v3, vcc_lo
	v_lshlrev_b64_e32 v[2:3], 1, v[6:7]
	s_delay_alu instid0(VALU_DEP_3) | instskip(SKIP_1) | instid1(VALU_DEP_3)
	v_add_co_u32 v4, vcc_lo, v13, v4
	s_wait_alu 0xfffd
	v_add_co_ci_u32_e64 v5, null, v14, v5, vcc_lo
	v_cmp_o_f32_e32 vcc_lo, v69, v69
	s_wait_alu 0xfffd
	v_cndmask_b32_e32 v6, 0x7fc0, v12, vcc_lo
	v_add_co_u32 v7, vcc_lo, v4, v2
	s_wait_alu 0xfffd
	v_add_co_ci_u32_e64 v12, null, v5, v3, vcc_lo
	v_lshlrev_b64_e32 v[2:3], 1, v[8:9]
	v_add_co_u32 v0, vcc_lo, v0, s40
	v_lshlrev_b64_e32 v[4:5], 1, v[10:11]
	s_wait_alu 0xfffd
	v_add_co_ci_u32_e64 v1, null, 0, v1, vcc_lo
	s_delay_alu instid0(VALU_DEP_4) | instskip(SKIP_2) | instid1(VALU_DEP_3)
	v_add_co_u32 v2, vcc_lo, v7, v2
	s_wait_alu 0xfffd
	v_add_co_ci_u32_e64 v3, null, v12, v3, vcc_lo
	v_cmp_le_i64_e32 vcc_lo, s[22:23], v[0:1]
	s_delay_alu instid0(VALU_DEP_3) | instskip(SKIP_1) | instid1(VALU_DEP_3)
	v_add_co_u32 v2, s0, v2, v4
	s_wait_alu 0xf1ff
	v_add_co_ci_u32_e64 v3, null, v3, v5, s0
	s_or_b32 s19, vcc_lo, s19
	global_store_b16 v[2:3], v6, off
	s_wait_alu 0xfffe
	s_and_not1_b32 exec_lo, exec_lo, s19
	s_cbranch_execz .LBB27_62
.LBB27_4:                               ; =>This Loop Header: Depth=1
                                        ;     Child Loop BB27_7 Depth 2
	v_sub_nc_u32_e32 v2, 0, v0
	s_delay_alu instid0(VALU_DEP_1) | instskip(NEXT) | instid1(VALU_DEP_1)
	v_max_i32_e32 v2, v0, v2
	v_mul_hi_u32 v3, v2, s45
	s_delay_alu instid0(VALU_DEP_1) | instskip(NEXT) | instid1(VALU_DEP_1)
	v_mul_lo_u32 v4, v3, s37
	v_sub_nc_u32_e32 v2, v2, v4
	v_add_nc_u32_e32 v4, 1, v3
	s_delay_alu instid0(VALU_DEP_2) | instskip(SKIP_2) | instid1(VALU_DEP_2)
	v_subrev_nc_u32_e32 v5, s37, v2
	v_cmp_le_u32_e32 vcc_lo, s37, v2
	s_wait_alu 0xfffd
	v_dual_cndmask_b32 v3, v3, v4 :: v_dual_cndmask_b32 v2, v2, v5
	v_ashrrev_i32_e32 v4, 31, v0
	s_delay_alu instid0(VALU_DEP_2) | instskip(NEXT) | instid1(VALU_DEP_3)
	v_add_nc_u32_e32 v5, 1, v3
	v_cmp_le_u32_e32 vcc_lo, s37, v2
	s_delay_alu instid0(VALU_DEP_3) | instskip(SKIP_1) | instid1(VALU_DEP_3)
	v_xor_b32_e32 v4, s41, v4
	s_wait_alu 0xfffd
	v_cndmask_b32_e32 v2, v3, v5, vcc_lo
	s_delay_alu instid0(VALU_DEP_1) | instskip(NEXT) | instid1(VALU_DEP_1)
	v_xor_b32_e32 v2, v2, v4
	v_sub_nc_u32_e32 v2, v2, v4
	s_delay_alu instid0(VALU_DEP_1) | instskip(NEXT) | instid1(VALU_DEP_1)
	v_sub_nc_u32_e32 v3, 0, v2
	v_max_i32_e32 v3, v2, v3
	s_delay_alu instid0(VALU_DEP_1) | instskip(NEXT) | instid1(VALU_DEP_1)
	v_mul_hi_u32 v4, v3, s46
	v_mul_lo_u32 v5, v4, s38
	s_delay_alu instid0(VALU_DEP_1) | instskip(SKIP_1) | instid1(VALU_DEP_2)
	v_sub_nc_u32_e32 v3, v3, v5
	v_add_nc_u32_e32 v5, 1, v4
	v_subrev_nc_u32_e32 v6, s38, v3
	v_cmp_le_u32_e32 vcc_lo, s38, v3
	s_wait_alu 0xfffd
	s_delay_alu instid0(VALU_DEP_2) | instskip(SKIP_1) | instid1(VALU_DEP_2)
	v_dual_cndmask_b32 v4, v4, v5 :: v_dual_cndmask_b32 v3, v3, v6
	v_ashrrev_i32_e32 v5, 31, v2
	v_add_nc_u32_e32 v6, 1, v4
	s_delay_alu instid0(VALU_DEP_3) | instskip(NEXT) | instid1(VALU_DEP_3)
	v_cmp_le_u32_e32 vcc_lo, s38, v3
	v_xor_b32_e32 v5, s42, v5
	s_wait_alu 0xfffd
	s_delay_alu instid0(VALU_DEP_3) | instskip(NEXT) | instid1(VALU_DEP_1)
	v_cndmask_b32_e32 v3, v4, v6, vcc_lo
	v_xor_b32_e32 v3, v3, v5
	s_delay_alu instid0(VALU_DEP_1) | instskip(NEXT) | instid1(VALU_DEP_1)
	v_sub_nc_u32_e32 v3, v3, v5
	v_sub_nc_u32_e32 v4, 0, v3
	s_delay_alu instid0(VALU_DEP_1) | instskip(NEXT) | instid1(VALU_DEP_1)
	v_max_i32_e32 v4, v3, v4
	v_mul_hi_u32 v5, v4, s47
	s_delay_alu instid0(VALU_DEP_1) | instskip(NEXT) | instid1(VALU_DEP_1)
	v_mul_lo_u32 v6, v5, s39
	v_sub_nc_u32_e32 v4, v4, v6
	v_add_nc_u32_e32 v6, 1, v5
	s_delay_alu instid0(VALU_DEP_2) | instskip(SKIP_2) | instid1(VALU_DEP_2)
	v_subrev_nc_u32_e32 v7, s39, v4
	v_cmp_le_u32_e32 vcc_lo, s39, v4
	s_wait_alu 0xfffd
	v_dual_cndmask_b32 v5, v5, v6 :: v_dual_cndmask_b32 v4, v4, v7
	v_ashrrev_i32_e32 v6, 31, v3
	s_delay_alu instid0(VALU_DEP_2) | instskip(NEXT) | instid1(VALU_DEP_3)
	v_add_nc_u32_e32 v7, 1, v5
	v_cmp_le_u32_e32 vcc_lo, s39, v4
	s_delay_alu instid0(VALU_DEP_3) | instskip(SKIP_1) | instid1(VALU_DEP_3)
	v_xor_b32_e32 v6, s43, v6
	s_wait_alu 0xfffd
	v_cndmask_b32_e32 v4, v5, v7, vcc_lo
	s_delay_alu instid0(VALU_DEP_1) | instskip(NEXT) | instid1(VALU_DEP_1)
	v_xor_b32_e32 v4, v4, v6
	v_sub_nc_u32_e32 v4, v4, v6
	s_delay_alu instid0(VALU_DEP_1) | instskip(NEXT) | instid1(VALU_DEP_1)
	v_sub_nc_u32_e32 v5, 0, v4
	v_max_i32_e32 v5, v4, v5
	s_delay_alu instid0(VALU_DEP_1) | instskip(NEXT) | instid1(VALU_DEP_1)
	v_mul_hi_u32 v6, v5, s44
	v_mul_lo_u32 v7, v6, s33
	s_delay_alu instid0(VALU_DEP_1) | instskip(SKIP_1) | instid1(VALU_DEP_2)
	v_sub_nc_u32_e32 v5, v5, v7
	v_add_nc_u32_e32 v7, 1, v6
	v_subrev_nc_u32_e32 v8, s33, v5
	v_cmp_le_u32_e32 vcc_lo, s33, v5
	s_wait_alu 0xfffd
	s_delay_alu instid0(VALU_DEP_2) | instskip(SKIP_1) | instid1(VALU_DEP_2)
	v_dual_cndmask_b32 v6, v6, v7 :: v_dual_cndmask_b32 v5, v5, v8
	v_ashrrev_i32_e32 v7, 31, v4
	v_add_nc_u32_e32 v8, 1, v6
	s_delay_alu instid0(VALU_DEP_3) | instskip(NEXT) | instid1(VALU_DEP_3)
	v_cmp_le_u32_e32 vcc_lo, s33, v5
	v_xor_b32_e32 v7, s34, v7
	s_wait_alu 0xfffd
	s_delay_alu instid0(VALU_DEP_3) | instskip(SKIP_2) | instid1(VALU_DEP_2)
	v_cndmask_b32_e32 v5, v6, v8, vcc_lo
	v_mul_lo_u32 v6, v3, s7
	s_and_not1_b32 vcc_lo, exec_lo, s36
	v_xor_b32_e32 v5, v5, v7
	s_delay_alu instid0(VALU_DEP_2) | instskip(NEXT) | instid1(VALU_DEP_2)
	v_sub_nc_u32_e32 v61, v2, v6
	v_sub_nc_u32_e32 v63, v5, v7
	v_mul_lo_u32 v5, v2, s20
	v_mul_lo_u32 v7, v4, s6
	s_delay_alu instid0(VALU_DEP_3) | instskip(NEXT) | instid1(VALU_DEP_3)
	v_mul_lo_u32 v8, v63, s5
	v_sub_nc_u32_e32 v60, v0, v5
	s_delay_alu instid0(VALU_DEP_3) | instskip(NEXT) | instid1(VALU_DEP_3)
	v_sub_nc_u32_e32 v62, v3, v7
	v_sub_nc_u32_e32 v64, v4, v8
	s_wait_alu 0xfffe
	s_cbranch_vccnz .LBB27_61
; %bb.5:                                ;   in Loop: Header=BB27_4 Depth=1
	s_delay_alu instid0(VALU_DEP_1) | instskip(SKIP_4) | instid1(VALU_DEP_3)
	v_mul_lo_u32 v65, v64, s35
	v_mul_lo_u32 v2, s26, v63
	v_add_nc_u32_e32 v7, s16, v62
	v_add_nc_u32_e32 v37, s17, v61
	v_dual_mov_b32 v69, 0 :: v_dual_add_nc_u32 v4, s18, v60
	v_mul_lo_u32 v21, v7, s10
	v_mul_lo_u32 v5, s8, v65
	v_ashrrev_i32_e32 v3, 31, v2
	s_delay_alu instid0(VALU_DEP_4)
	v_or_b32_e32 v8, v4, v37
	v_add_nc_u32_e32 v55, -1, v4
	v_cmp_gt_i32_e64 s0, s10, v37
	v_add_nc_u32_e32 v41, -2, v7
	v_lshlrev_b64_e32 v[2:3], 1, v[2:3]
	v_add_nc_u32_e32 v9, v37, v21
	v_ashrrev_i32_e32 v6, 31, v5
	v_add_nc_u32_e32 v23, -1, v7
	v_cmp_gt_i32_e32 vcc_lo, s9, v7
	v_add_nc_u32_e32 v57, -2, v4
	v_add_co_u32 v67, s1, s24, v2
	v_lshlrev_b64_e32 v[5:6], 1, v[5:6]
	s_wait_alu 0xf1ff
	v_add_co_ci_u32_e64 v68, null, s25, v3, s1
	v_mul_lo_u32 v10, v9, s11
	v_or_b32_e32 v9, v55, v37
	v_or_b32_e32 v42, v8, v41
	v_add_co_u32 v2, s1, s30, v5
	v_or_b32_e32 v5, v8, v7
	s_wait_alu 0xf1ff
	v_add_co_ci_u32_e64 v3, null, s31, v6, s1
	v_cmp_gt_i32_e64 s1, s11, v4
	v_or_b32_e32 v22, v8, v23
	v_cmp_lt_i32_e64 s2, -1, v5
	v_or_b32_e32 v8, v9, v7
	v_or_b32_e32 v11, v57, v37
	s_and_b32 s64, s1, s0
	v_add_nc_u32_e32 v44, -1, v37
	s_and_b32 s2, s64, s2
	v_cmp_lt_i32_e64 s3, -1, v8
	s_wait_alu 0xfffe
	s_and_b32 s49, s2, vcc_lo
	v_cmp_gt_i32_e64 s2, s11, v55
	v_or_b32_e32 v12, v11, v7
	v_or_b32_e32 v13, v4, v44
	;; [unrolled: 1-line block ×3, first 2 shown]
	v_add_nc_u32_e32 v14, v44, v21
	s_and_b32 s65, s2, s0
	v_cmp_lt_i32_e64 s4, -1, v12
	s_and_b32 s3, s65, s3
	v_or_b32_e32 v12, v13, v7
	s_wait_alu 0xfffe
	s_and_b32 s50, s3, vcc_lo
	v_cmp_gt_i32_e64 s3, s11, v57
	v_mul_lo_u32 v17, v14, s11
	v_or_b32_e32 v14, v15, v7
	v_or_b32_e32 v16, v57, v44
	v_add_nc_u32_e32 v49, -2, v37
	s_and_b32 s66, s3, s0
	v_cmp_gt_i32_e64 s0, s10, v44
	s_and_b32 s4, s66, s4
	v_or_b32_e32 v18, v16, v7
	s_wait_alu 0xfffe
	s_and_b32 s51, s4, vcc_lo
	v_cmp_lt_i32_e64 s4, -1, v12
	s_and_b32 s67, s1, s0
	s_and_b32 s68, s2, s0
	v_or_b32_e32 v24, v55, v49
	s_and_b32 s69, s3, s0
	s_and_b32 s4, s67, s4
	v_or_b32_e32 v19, v4, v49
	s_wait_alu 0xfffe
	s_and_b32 s52, s4, vcc_lo
	v_cmp_lt_i32_e64 s4, -1, v14
	v_or_b32_e32 v20, v24, v7
	v_or_b32_e32 v26, v57, v49
	;; [unrolled: 1-line block ×4, first 2 shown]
	s_and_b32 s4, s68, s4
	v_or_b32_e32 v28, v13, v23
	s_wait_alu 0xfffe
	s_and_b32 s53, s4, vcc_lo
	v_cmp_lt_i32_e64 s4, -1, v18
	v_add_nc_u32_e32 v18, v49, v21
	v_or_b32_e32 v29, v15, v23
	v_or_b32_e32 v33, v16, v23
	;; [unrolled: 1-line block ×3, first 2 shown]
	s_and_b32 s0, s69, s4
	v_mul_lo_u32 v30, v18, s11
	s_wait_alu 0xfffe
	s_and_b32 s54, s0, vcc_lo
	v_cmp_gt_i32_e64 s0, s10, v49
	v_or_b32_e32 v18, v19, v7
	v_or_b32_e32 v7, v26, v7
	;; [unrolled: 1-line block ×4, first 2 shown]
	s_and_b32 s70, s1, s0
	v_cmp_lt_i32_e64 s1, -1, v20
	s_and_b32 s71, s2, s0
	v_cmp_lt_i32_e64 s4, -1, v18
	;; [unrolled: 2-line block ×3, first 2 shown]
	s_and_b32 s1, s71, s1
	v_or_b32_e32 v43, v9, v41
	s_wait_alu 0xfffe
	s_and_b32 s2, s1, vcc_lo
	v_cmp_lt_i32_e64 s1, -1, v7
	s_and_b32 s4, s70, s4
	s_and_b32 s0, s64, s0
	s_wait_alu 0xfffe
	s_and_b32 s4, s4, vcc_lo
	v_subrev_nc_u32_e32 v35, s10, v21
	s_and_b32 s3, s72, s1
	v_cmp_gt_i32_e64 s1, s9, v23
	s_wait_alu 0xfffe
	s_and_b32 s3, s3, vcc_lo
	v_cmp_lt_i32_e32 vcc_lo, -1, v25
	v_or_b32_e32 v45, v11, v41
	v_subrev_nc_u32_e32 v52, s10, v35
	s_and_b32 s55, s0, s1
	v_or_b32_e32 v46, v13, v41
	s_and_b32 s0, s65, vcc_lo
	v_cmp_lt_i32_e32 vcc_lo, -1, v27
	s_wait_alu 0xfffe
	s_and_b32 s56, s0, s1
	v_cmp_lt_i32_e64 s0, -1, v28
	v_or_b32_e32 v47, v15, v41
	v_or_b32_e32 v56, v24, v41
	s_and_b32 s57, s66, vcc_lo
	v_cmp_lt_i32_e32 vcc_lo, -1, v29
	s_and_b32 s0, s67, s0
	s_and_b32 s57, s57, s1
	s_wait_alu 0xfffe
	s_and_b32 s58, s0, s1
	v_add_nc_u32_e32 v24, v37, v35
	s_and_b32 s0, s68, vcc_lo
	v_cmp_lt_i32_e32 vcc_lo, -1, v33
	s_wait_alu 0xfffe
	s_and_b32 s59, s0, s1
	v_cmp_lt_i32_e64 s0, -1, v34
	v_add_nc_u32_e32 v25, v44, v35
	v_add_nc_u32_e32 v40, v49, v35
	s_and_b32 s60, s69, vcc_lo
	v_cmp_lt_i32_e32 vcc_lo, -1, v38
	s_and_b32 s0, s70, s0
	s_and_b32 s60, s60, s1
	s_wait_alu 0xfffe
	s_and_b32 s61, s0, s1
	v_cmp_lt_i32_e64 s0, -1, v39
	s_and_b32 s62, s71, vcc_lo
	v_cmp_lt_i32_e32 vcc_lo, -1, v42
	s_and_b32 s62, s62, s1
	v_add_nc_u32_e32 v48, v37, v52
	s_and_b32 s0, s72, s0
	v_add_nc_u32_e32 v53, v44, v52
	s_wait_alu 0xfffe
	s_and_b32 s63, s0, s1
	v_cmp_gt_i32_e64 s0, s9, v41
	s_and_b32 s1, s64, vcc_lo
	v_cmp_lt_i32_e32 vcc_lo, -1, v43
	v_add_nc_u32_e32 v52, v49, v52
	v_or_b32_e32 v50, v16, v41
	s_wait_alu 0xfffe
	s_and_b32 s64, s1, s0
	v_add_nc_u32_e32 v18, v4, v30
	s_and_b32 s1, s65, vcc_lo
	v_cmp_lt_i32_e32 vcc_lo, -1, v45
	s_wait_alu 0xfffe
	s_and_b32 s65, s1, s0
	v_cmp_lt_i32_e64 s1, -1, v46
	v_add_nc_u32_e32 v20, v55, v30
	v_add_nc_u32_e32 v22, v57, v30
	s_and_b32 s66, s66, vcc_lo
	v_cmp_lt_i32_e32 vcc_lo, -1, v47
	v_mul_lo_u32 v30, v24, s11
	v_mul_lo_u32 v36, v25, s11
	v_mul_lo_u32 v40, v40, s11
	v_mul_lo_u32 v48, v48, s11
	v_mul_lo_u32 v53, v53, s11
	v_mul_lo_u32 v58, v52, s11
	s_and_b32 s1, s67, s1
	v_or_b32_e32 v51, v19, v41
	s_wait_alu 0xfffe
	s_and_b32 s67, s1, s0
	s_and_b32 s1, s68, vcc_lo
	v_cmp_lt_i32_e32 vcc_lo, -1, v50
	v_add_nc_u32_e32 v5, v4, v10
	v_add_nc_u32_e32 v8, v55, v10
	;; [unrolled: 1-line block ×6, first 2 shown]
	v_or_b32_e32 v7, v26, v41
	v_add_nc_u32_e32 v24, v4, v30
	v_add_nc_u32_e32 v26, v55, v30
	;; [unrolled: 1-line block ×13, first 2 shown]
	s_wait_alu 0xfffe
	s_and_b32 s68, s1, s0
	v_add_nc_u32_e32 v50, v55, v53
	v_cmp_lt_i32_e64 s1, -1, v51
	v_add_nc_u32_e32 v52, v57, v53
	s_and_b32 s69, s69, vcc_lo
	v_add_nc_u32_e32 v54, v4, v58
	v_cmp_lt_i32_e32 vcc_lo, -1, v56
	v_add_nc_u32_e32 v56, v55, v58
	v_add_nc_u32_e32 v58, v57, v58
	v_ashrrev_i32_e32 v6, 31, v5
	v_ashrrev_i32_e32 v9, 31, v8
	;; [unrolled: 1-line block ×23, first 2 shown]
	s_and_b32 s1, s70, s1
	v_ashrrev_i32_e32 v53, 31, v52
	v_ashrrev_i32_e32 v55, 31, v54
	;; [unrolled: 1-line block ×4, first 2 shown]
	s_wait_alu 0xfffe
	s_and_b32 s70, s1, s0
	v_cmp_lt_i32_e64 s1, -1, v7
	v_mul_lo_u32 v4, s48, v64
	v_lshlrev_b64_e32 v[6:7], 1, v[5:6]
	v_lshlrev_b64_e32 v[8:9], 1, v[8:9]
	;; [unrolled: 1-line block ×27, first 2 shown]
	v_add_nc_u32_e32 v66, s35, v65
	s_and_b32 s71, s71, vcc_lo
	s_and_b32 s72, s72, s1
	s_and_b32 s66, s66, s0
	;; [unrolled: 1-line block ×5, first 2 shown]
	s_mov_b32 s71, 0
	s_branch .LBB27_7
.LBB27_6:                               ;   in Loop: Header=BB27_7 Depth=2
	s_wait_alu 0xfffe
	s_or_b32 exec_lo, exec_lo, s0
	s_wait_loadcnt 0x19
	v_lshlrev_b32_e32 v71, 16, v74
	v_lshlrev_b32_e32 v70, 16, v70
	v_add_nc_u32_e32 v65, 1, v65
	v_add_co_u32 v2, s0, v2, 54
	s_wait_alu 0xf1ff
	v_add_co_ci_u32_e64 v3, null, 0, v3, s0
	v_fmac_f32_e32 v69, v5, v70
	s_wait_loadcnt 0x18
	v_lshlrev_b32_e32 v5, 16, v76
	v_cmp_ge_i32_e32 vcc_lo, v65, v66
	s_delay_alu instid0(VALU_DEP_3) | instskip(SKIP_3) | instid1(VALU_DEP_2)
	v_dual_fmac_f32 v69, v75, v71 :: v_dual_add_nc_u32 v4, s27, v4
	s_wait_loadcnt 0x17
	v_lshlrev_b32_e32 v70, 16, v78
	s_or_b32 s71, vcc_lo, s71
	v_fmac_f32_e32 v69, v73, v5
	s_wait_loadcnt 0x16
	v_lshlrev_b32_e32 v5, 16, v80
	s_delay_alu instid0(VALU_DEP_2) | instskip(SKIP_1) | instid1(VALU_DEP_1)
	v_fmac_f32_e32 v69, v79, v70
	s_wait_loadcnt 0x15
	v_dual_fmac_f32 v69, v77, v5 :: v_dual_lshlrev_b32 v70, 16, v82
	s_wait_loadcnt 0x14
	v_lshlrev_b32_e32 v5, 16, v84
	s_delay_alu instid0(VALU_DEP_2) | instskip(SKIP_1) | instid1(VALU_DEP_1)
	v_fmac_f32_e32 v69, v83, v70
	s_wait_loadcnt 0x13
	v_dual_fmac_f32 v69, v81, v5 :: v_dual_lshlrev_b32 v70, 16, v86
	;; [unrolled: 6-line block ×10, first 2 shown]
	s_wait_loadcnt 0x2
	v_lshlrev_b32_e32 v5, 16, v120
	s_wait_loadcnt 0x1
	s_delay_alu instid0(VALU_DEP_2) | instskip(NEXT) | instid1(VALU_DEP_1)
	v_dual_fmac_f32 v69, v119, v70 :: v_dual_lshlrev_b32 v70, 16, v123
	v_fmac_f32_e32 v69, v117, v5
	s_wait_loadcnt 0x0
	v_lshlrev_b32_e32 v5, 16, v124
	s_delay_alu instid0(VALU_DEP_2) | instskip(NEXT) | instid1(VALU_DEP_1)
	v_fmac_f32_e32 v69, v122, v70
	v_fmac_f32_e32 v69, v121, v5
	s_and_not1_b32 exec_lo, exec_lo, s71
	s_cbranch_execz .LBB27_2
.LBB27_7:                               ;   Parent Loop BB27_4 Depth=1
                                        ; =>  This Inner Loop Header: Depth=2
	global_load_u16 v70, v[2:3], off
	v_ashrrev_i32_e32 v5, 31, v4
	s_delay_alu instid0(VALU_DEP_1) | instskip(SKIP_1) | instid1(VALU_DEP_2)
	v_lshlrev_b64_e32 v[71:72], 1, v[4:5]
	v_mov_b32_e32 v5, 0
	v_add_co_u32 v71, vcc_lo, v67, v71
	s_wait_alu 0xfffd
	s_delay_alu instid0(VALU_DEP_3)
	v_add_co_ci_u32_e64 v72, null, v68, v72, vcc_lo
	s_and_saveexec_b32 s0, s49
	s_cbranch_execz .LBB27_9
; %bb.8:                                ;   in Loop: Header=BB27_7 Depth=2
	v_add_co_u32 v73, vcc_lo, v71, v6
	s_wait_alu 0xfffd
	v_add_co_ci_u32_e64 v74, null, v72, v7, vcc_lo
	global_load_u16 v5, v[73:74], off
	s_wait_loadcnt 0x0
	v_lshlrev_b32_e32 v5, 16, v5
.LBB27_9:                               ;   in Loop: Header=BB27_7 Depth=2
	s_wait_alu 0xfffe
	s_or_b32 exec_lo, exec_lo, s0
	global_load_u16 v74, v[2:3], off offset:2
	v_mov_b32_e32 v73, 0
	v_mov_b32_e32 v75, 0
	s_and_saveexec_b32 s0, s50
	s_cbranch_execz .LBB27_11
; %bb.10:                               ;   in Loop: Header=BB27_7 Depth=2
	v_add_co_u32 v75, vcc_lo, v71, v8
	s_wait_alu 0xfffd
	v_add_co_ci_u32_e64 v76, null, v72, v9, vcc_lo
	global_load_u16 v75, v[75:76], off
	s_wait_loadcnt 0x0
	v_lshlrev_b32_e32 v75, 16, v75
.LBB27_11:                              ;   in Loop: Header=BB27_7 Depth=2
	s_wait_alu 0xfffe
	s_or_b32 exec_lo, exec_lo, s0
	global_load_u16 v76, v[2:3], off offset:4
	s_and_saveexec_b32 s0, s51
	s_cbranch_execz .LBB27_13
; %bb.12:                               ;   in Loop: Header=BB27_7 Depth=2
	v_add_co_u32 v77, vcc_lo, v71, v10
	s_wait_alu 0xfffd
	v_add_co_ci_u32_e64 v78, null, v72, v11, vcc_lo
	global_load_u16 v73, v[77:78], off
	s_wait_loadcnt 0x0
	v_lshlrev_b32_e32 v73, 16, v73
.LBB27_13:                              ;   in Loop: Header=BB27_7 Depth=2
	s_wait_alu 0xfffe
	s_or_b32 exec_lo, exec_lo, s0
	global_load_u16 v78, v[2:3], off offset:6
	v_mov_b32_e32 v77, 0
	v_mov_b32_e32 v79, 0
	s_and_saveexec_b32 s0, s52
	s_cbranch_execz .LBB27_15
; %bb.14:                               ;   in Loop: Header=BB27_7 Depth=2
	v_add_co_u32 v79, vcc_lo, v71, v12
	s_wait_alu 0xfffd
	v_add_co_ci_u32_e64 v80, null, v72, v13, vcc_lo
	global_load_u16 v79, v[79:80], off
	s_wait_loadcnt 0x0
	v_lshlrev_b32_e32 v79, 16, v79
.LBB27_15:                              ;   in Loop: Header=BB27_7 Depth=2
	s_wait_alu 0xfffe
	s_or_b32 exec_lo, exec_lo, s0
	global_load_u16 v80, v[2:3], off offset:8
	s_and_saveexec_b32 s0, s53
	s_cbranch_execz .LBB27_17
; %bb.16:                               ;   in Loop: Header=BB27_7 Depth=2
	v_add_co_u32 v81, vcc_lo, v71, v14
	s_wait_alu 0xfffd
	v_add_co_ci_u32_e64 v82, null, v72, v15, vcc_lo
	global_load_u16 v77, v[81:82], off
	s_wait_loadcnt 0x0
	v_lshlrev_b32_e32 v77, 16, v77
.LBB27_17:                              ;   in Loop: Header=BB27_7 Depth=2
	;; [unrolled: 28-line block ×12, first 2 shown]
	s_wait_alu 0xfffe
	s_or_b32 exec_lo, exec_lo, s0
	global_load_u16 v123, v[2:3], off offset:50
	v_dual_mov_b32 v121, 0 :: v_dual_mov_b32 v122, 0
	s_and_saveexec_b32 s0, s1
	s_cbranch_execz .LBB27_59
; %bb.58:                               ;   in Loop: Header=BB27_7 Depth=2
	v_add_co_u32 v124, vcc_lo, v71, v56
	s_wait_alu 0xfffd
	v_add_co_ci_u32_e64 v125, null, v72, v57, vcc_lo
	global_load_u16 v122, v[124:125], off
	s_wait_loadcnt 0x0
	v_lshlrev_b32_e32 v122, 16, v122
.LBB27_59:                              ;   in Loop: Header=BB27_7 Depth=2
	s_wait_alu 0xfffe
	s_or_b32 exec_lo, exec_lo, s0
	global_load_u16 v124, v[2:3], off offset:52
	s_and_saveexec_b32 s0, s72
	s_cbranch_execz .LBB27_6
; %bb.60:                               ;   in Loop: Header=BB27_7 Depth=2
	v_add_co_u32 v71, vcc_lo, v71, v58
	s_wait_alu 0xfffd
	v_add_co_ci_u32_e64 v72, null, v72, v59, vcc_lo
	global_load_u16 v71, v[71:72], off
	s_wait_loadcnt 0x0
	v_lshlrev_b32_e32 v121, 16, v71
	s_branch .LBB27_6
.LBB27_61:                              ;   in Loop: Header=BB27_4 Depth=1
	v_mov_b32_e32 v69, 0
	s_branch .LBB27_3
.LBB27_62:
	s_nop 0
	s_sendmsg sendmsg(MSG_DEALLOC_VGPRS)
	s_endpgm
	.section	.rodata,"a",@progbits
	.p2align	6, 0x0
	.amdhsa_kernel _ZN2at6native12_GLOBAL__N_143conv_depthwise3d_cuda_backward_input_kernelIN3c108BFloat16EfLi3ELi3ELi3ELi1ELi1ELi1ELi1ELi1ELi1EEEvN5torch10headeronly6detail27GenericPackedTensorAccessorINS7_14TensorAccessorINS3_8ArrayRefIlEEKT_Lm4ENS6_16DefaultPtrTraitsEiEENS_6detail16IndexBoundsCheckILm5EiEESD_Lm5ESE_iEENS8_INS9_ISB_SC_Lm4ESE_iEESI_SC_Lm5ESE_iEESJ_iiiiiiiii
		.amdhsa_group_segment_fixed_size 0
		.amdhsa_private_segment_fixed_size 0
		.amdhsa_kernarg_size 440
		.amdhsa_user_sgpr_count 2
		.amdhsa_user_sgpr_dispatch_ptr 0
		.amdhsa_user_sgpr_queue_ptr 0
		.amdhsa_user_sgpr_kernarg_segment_ptr 1
		.amdhsa_user_sgpr_dispatch_id 0
		.amdhsa_user_sgpr_private_segment_size 0
		.amdhsa_wavefront_size32 1
		.amdhsa_uses_dynamic_stack 0
		.amdhsa_enable_private_segment 0
		.amdhsa_system_sgpr_workgroup_id_x 1
		.amdhsa_system_sgpr_workgroup_id_y 0
		.amdhsa_system_sgpr_workgroup_id_z 0
		.amdhsa_system_sgpr_workgroup_info 0
		.amdhsa_system_vgpr_workitem_id 0
		.amdhsa_next_free_vgpr 126
		.amdhsa_next_free_sgpr 73
		.amdhsa_reserve_vcc 1
		.amdhsa_float_round_mode_32 0
		.amdhsa_float_round_mode_16_64 0
		.amdhsa_float_denorm_mode_32 3
		.amdhsa_float_denorm_mode_16_64 3
		.amdhsa_fp16_overflow 0
		.amdhsa_workgroup_processor_mode 1
		.amdhsa_memory_ordered 1
		.amdhsa_forward_progress 1
		.amdhsa_inst_pref_size 40
		.amdhsa_round_robin_scheduling 0
		.amdhsa_exception_fp_ieee_invalid_op 0
		.amdhsa_exception_fp_denorm_src 0
		.amdhsa_exception_fp_ieee_div_zero 0
		.amdhsa_exception_fp_ieee_overflow 0
		.amdhsa_exception_fp_ieee_underflow 0
		.amdhsa_exception_fp_ieee_inexact 0
		.amdhsa_exception_int_div_zero 0
	.end_amdhsa_kernel
	.section	.text._ZN2at6native12_GLOBAL__N_143conv_depthwise3d_cuda_backward_input_kernelIN3c108BFloat16EfLi3ELi3ELi3ELi1ELi1ELi1ELi1ELi1ELi1EEEvN5torch10headeronly6detail27GenericPackedTensorAccessorINS7_14TensorAccessorINS3_8ArrayRefIlEEKT_Lm4ENS6_16DefaultPtrTraitsEiEENS_6detail16IndexBoundsCheckILm5EiEESD_Lm5ESE_iEENS8_INS9_ISB_SC_Lm4ESE_iEESI_SC_Lm5ESE_iEESJ_iiiiiiiii,"axG",@progbits,_ZN2at6native12_GLOBAL__N_143conv_depthwise3d_cuda_backward_input_kernelIN3c108BFloat16EfLi3ELi3ELi3ELi1ELi1ELi1ELi1ELi1ELi1EEEvN5torch10headeronly6detail27GenericPackedTensorAccessorINS7_14TensorAccessorINS3_8ArrayRefIlEEKT_Lm4ENS6_16DefaultPtrTraitsEiEENS_6detail16IndexBoundsCheckILm5EiEESD_Lm5ESE_iEENS8_INS9_ISB_SC_Lm4ESE_iEESI_SC_Lm5ESE_iEESJ_iiiiiiiii,comdat
.Lfunc_end27:
	.size	_ZN2at6native12_GLOBAL__N_143conv_depthwise3d_cuda_backward_input_kernelIN3c108BFloat16EfLi3ELi3ELi3ELi1ELi1ELi1ELi1ELi1ELi1EEEvN5torch10headeronly6detail27GenericPackedTensorAccessorINS7_14TensorAccessorINS3_8ArrayRefIlEEKT_Lm4ENS6_16DefaultPtrTraitsEiEENS_6detail16IndexBoundsCheckILm5EiEESD_Lm5ESE_iEENS8_INS9_ISB_SC_Lm4ESE_iEESI_SC_Lm5ESE_iEESJ_iiiiiiiii, .Lfunc_end27-_ZN2at6native12_GLOBAL__N_143conv_depthwise3d_cuda_backward_input_kernelIN3c108BFloat16EfLi3ELi3ELi3ELi1ELi1ELi1ELi1ELi1ELi1EEEvN5torch10headeronly6detail27GenericPackedTensorAccessorINS7_14TensorAccessorINS3_8ArrayRefIlEEKT_Lm4ENS6_16DefaultPtrTraitsEiEENS_6detail16IndexBoundsCheckILm5EiEESD_Lm5ESE_iEENS8_INS9_ISB_SC_Lm4ESE_iEESI_SC_Lm5ESE_iEESJ_iiiiiiiii
                                        ; -- End function
	.set _ZN2at6native12_GLOBAL__N_143conv_depthwise3d_cuda_backward_input_kernelIN3c108BFloat16EfLi3ELi3ELi3ELi1ELi1ELi1ELi1ELi1ELi1EEEvN5torch10headeronly6detail27GenericPackedTensorAccessorINS7_14TensorAccessorINS3_8ArrayRefIlEEKT_Lm4ENS6_16DefaultPtrTraitsEiEENS_6detail16IndexBoundsCheckILm5EiEESD_Lm5ESE_iEENS8_INS9_ISB_SC_Lm4ESE_iEESI_SC_Lm5ESE_iEESJ_iiiiiiiii.num_vgpr, 126
	.set _ZN2at6native12_GLOBAL__N_143conv_depthwise3d_cuda_backward_input_kernelIN3c108BFloat16EfLi3ELi3ELi3ELi1ELi1ELi1ELi1ELi1ELi1EEEvN5torch10headeronly6detail27GenericPackedTensorAccessorINS7_14TensorAccessorINS3_8ArrayRefIlEEKT_Lm4ENS6_16DefaultPtrTraitsEiEENS_6detail16IndexBoundsCheckILm5EiEESD_Lm5ESE_iEENS8_INS9_ISB_SC_Lm4ESE_iEESI_SC_Lm5ESE_iEESJ_iiiiiiiii.num_agpr, 0
	.set _ZN2at6native12_GLOBAL__N_143conv_depthwise3d_cuda_backward_input_kernelIN3c108BFloat16EfLi3ELi3ELi3ELi1ELi1ELi1ELi1ELi1ELi1EEEvN5torch10headeronly6detail27GenericPackedTensorAccessorINS7_14TensorAccessorINS3_8ArrayRefIlEEKT_Lm4ENS6_16DefaultPtrTraitsEiEENS_6detail16IndexBoundsCheckILm5EiEESD_Lm5ESE_iEENS8_INS9_ISB_SC_Lm4ESE_iEESI_SC_Lm5ESE_iEESJ_iiiiiiiii.numbered_sgpr, 73
	.set _ZN2at6native12_GLOBAL__N_143conv_depthwise3d_cuda_backward_input_kernelIN3c108BFloat16EfLi3ELi3ELi3ELi1ELi1ELi1ELi1ELi1ELi1EEEvN5torch10headeronly6detail27GenericPackedTensorAccessorINS7_14TensorAccessorINS3_8ArrayRefIlEEKT_Lm4ENS6_16DefaultPtrTraitsEiEENS_6detail16IndexBoundsCheckILm5EiEESD_Lm5ESE_iEENS8_INS9_ISB_SC_Lm4ESE_iEESI_SC_Lm5ESE_iEESJ_iiiiiiiii.num_named_barrier, 0
	.set _ZN2at6native12_GLOBAL__N_143conv_depthwise3d_cuda_backward_input_kernelIN3c108BFloat16EfLi3ELi3ELi3ELi1ELi1ELi1ELi1ELi1ELi1EEEvN5torch10headeronly6detail27GenericPackedTensorAccessorINS7_14TensorAccessorINS3_8ArrayRefIlEEKT_Lm4ENS6_16DefaultPtrTraitsEiEENS_6detail16IndexBoundsCheckILm5EiEESD_Lm5ESE_iEENS8_INS9_ISB_SC_Lm4ESE_iEESI_SC_Lm5ESE_iEESJ_iiiiiiiii.private_seg_size, 0
	.set _ZN2at6native12_GLOBAL__N_143conv_depthwise3d_cuda_backward_input_kernelIN3c108BFloat16EfLi3ELi3ELi3ELi1ELi1ELi1ELi1ELi1ELi1EEEvN5torch10headeronly6detail27GenericPackedTensorAccessorINS7_14TensorAccessorINS3_8ArrayRefIlEEKT_Lm4ENS6_16DefaultPtrTraitsEiEENS_6detail16IndexBoundsCheckILm5EiEESD_Lm5ESE_iEENS8_INS9_ISB_SC_Lm4ESE_iEESI_SC_Lm5ESE_iEESJ_iiiiiiiii.uses_vcc, 1
	.set _ZN2at6native12_GLOBAL__N_143conv_depthwise3d_cuda_backward_input_kernelIN3c108BFloat16EfLi3ELi3ELi3ELi1ELi1ELi1ELi1ELi1ELi1EEEvN5torch10headeronly6detail27GenericPackedTensorAccessorINS7_14TensorAccessorINS3_8ArrayRefIlEEKT_Lm4ENS6_16DefaultPtrTraitsEiEENS_6detail16IndexBoundsCheckILm5EiEESD_Lm5ESE_iEENS8_INS9_ISB_SC_Lm4ESE_iEESI_SC_Lm5ESE_iEESJ_iiiiiiiii.uses_flat_scratch, 0
	.set _ZN2at6native12_GLOBAL__N_143conv_depthwise3d_cuda_backward_input_kernelIN3c108BFloat16EfLi3ELi3ELi3ELi1ELi1ELi1ELi1ELi1ELi1EEEvN5torch10headeronly6detail27GenericPackedTensorAccessorINS7_14TensorAccessorINS3_8ArrayRefIlEEKT_Lm4ENS6_16DefaultPtrTraitsEiEENS_6detail16IndexBoundsCheckILm5EiEESD_Lm5ESE_iEENS8_INS9_ISB_SC_Lm4ESE_iEESI_SC_Lm5ESE_iEESJ_iiiiiiiii.has_dyn_sized_stack, 0
	.set _ZN2at6native12_GLOBAL__N_143conv_depthwise3d_cuda_backward_input_kernelIN3c108BFloat16EfLi3ELi3ELi3ELi1ELi1ELi1ELi1ELi1ELi1EEEvN5torch10headeronly6detail27GenericPackedTensorAccessorINS7_14TensorAccessorINS3_8ArrayRefIlEEKT_Lm4ENS6_16DefaultPtrTraitsEiEENS_6detail16IndexBoundsCheckILm5EiEESD_Lm5ESE_iEENS8_INS9_ISB_SC_Lm4ESE_iEESI_SC_Lm5ESE_iEESJ_iiiiiiiii.has_recursion, 0
	.set _ZN2at6native12_GLOBAL__N_143conv_depthwise3d_cuda_backward_input_kernelIN3c108BFloat16EfLi3ELi3ELi3ELi1ELi1ELi1ELi1ELi1ELi1EEEvN5torch10headeronly6detail27GenericPackedTensorAccessorINS7_14TensorAccessorINS3_8ArrayRefIlEEKT_Lm4ENS6_16DefaultPtrTraitsEiEENS_6detail16IndexBoundsCheckILm5EiEESD_Lm5ESE_iEENS8_INS9_ISB_SC_Lm4ESE_iEESI_SC_Lm5ESE_iEESJ_iiiiiiiii.has_indirect_call, 0
	.section	.AMDGPU.csdata,"",@progbits
; Kernel info:
; codeLenInByte = 5076
; TotalNumSgprs: 75
; NumVgprs: 126
; ScratchSize: 0
; MemoryBound: 0
; FloatMode: 240
; IeeeMode: 1
; LDSByteSize: 0 bytes/workgroup (compile time only)
; SGPRBlocks: 0
; VGPRBlocks: 15
; NumSGPRsForWavesPerEU: 75
; NumVGPRsForWavesPerEU: 126
; Occupancy: 10
; WaveLimiterHint : 0
; COMPUTE_PGM_RSRC2:SCRATCH_EN: 0
; COMPUTE_PGM_RSRC2:USER_SGPR: 2
; COMPUTE_PGM_RSRC2:TRAP_HANDLER: 0
; COMPUTE_PGM_RSRC2:TGID_X_EN: 1
; COMPUTE_PGM_RSRC2:TGID_Y_EN: 0
; COMPUTE_PGM_RSRC2:TGID_Z_EN: 0
; COMPUTE_PGM_RSRC2:TIDIG_COMP_CNT: 0
	.section	.text._ZN2at6native12_GLOBAL__N_143conv_depthwise3d_cuda_backward_input_kernelIN3c108BFloat16EfLi3ELi3ELi3ELi1ELi1ELi1ELin1ELin1ELin1EEEvN5torch10headeronly6detail27GenericPackedTensorAccessorINS7_14TensorAccessorINS3_8ArrayRefIlEEKT_Lm4ENS6_16DefaultPtrTraitsEiEENS_6detail16IndexBoundsCheckILm5EiEESD_Lm5ESE_iEENS8_INS9_ISB_SC_Lm4ESE_iEESI_SC_Lm5ESE_iEESJ_iiiiiiiii,"axG",@progbits,_ZN2at6native12_GLOBAL__N_143conv_depthwise3d_cuda_backward_input_kernelIN3c108BFloat16EfLi3ELi3ELi3ELi1ELi1ELi1ELin1ELin1ELin1EEEvN5torch10headeronly6detail27GenericPackedTensorAccessorINS7_14TensorAccessorINS3_8ArrayRefIlEEKT_Lm4ENS6_16DefaultPtrTraitsEiEENS_6detail16IndexBoundsCheckILm5EiEESD_Lm5ESE_iEENS8_INS9_ISB_SC_Lm4ESE_iEESI_SC_Lm5ESE_iEESJ_iiiiiiiii,comdat
	.globl	_ZN2at6native12_GLOBAL__N_143conv_depthwise3d_cuda_backward_input_kernelIN3c108BFloat16EfLi3ELi3ELi3ELi1ELi1ELi1ELin1ELin1ELin1EEEvN5torch10headeronly6detail27GenericPackedTensorAccessorINS7_14TensorAccessorINS3_8ArrayRefIlEEKT_Lm4ENS6_16DefaultPtrTraitsEiEENS_6detail16IndexBoundsCheckILm5EiEESD_Lm5ESE_iEENS8_INS9_ISB_SC_Lm4ESE_iEESI_SC_Lm5ESE_iEESJ_iiiiiiiii ; -- Begin function _ZN2at6native12_GLOBAL__N_143conv_depthwise3d_cuda_backward_input_kernelIN3c108BFloat16EfLi3ELi3ELi3ELi1ELi1ELi1ELin1ELin1ELin1EEEvN5torch10headeronly6detail27GenericPackedTensorAccessorINS7_14TensorAccessorINS3_8ArrayRefIlEEKT_Lm4ENS6_16DefaultPtrTraitsEiEENS_6detail16IndexBoundsCheckILm5EiEESD_Lm5ESE_iEENS8_INS9_ISB_SC_Lm4ESE_iEESI_SC_Lm5ESE_iEESJ_iiiiiiiii
	.p2align	8
	.type	_ZN2at6native12_GLOBAL__N_143conv_depthwise3d_cuda_backward_input_kernelIN3c108BFloat16EfLi3ELi3ELi3ELi1ELi1ELi1ELin1ELin1ELin1EEEvN5torch10headeronly6detail27GenericPackedTensorAccessorINS7_14TensorAccessorINS3_8ArrayRefIlEEKT_Lm4ENS6_16DefaultPtrTraitsEiEENS_6detail16IndexBoundsCheckILm5EiEESD_Lm5ESE_iEENS8_INS9_ISB_SC_Lm4ESE_iEESI_SC_Lm5ESE_iEESJ_iiiiiiiii,@function
_ZN2at6native12_GLOBAL__N_143conv_depthwise3d_cuda_backward_input_kernelIN3c108BFloat16EfLi3ELi3ELi3ELi1ELi1ELi1ELin1ELin1ELin1EEEvN5torch10headeronly6detail27GenericPackedTensorAccessorINS7_14TensorAccessorINS3_8ArrayRefIlEEKT_Lm4ENS6_16DefaultPtrTraitsEiEENS_6detail16IndexBoundsCheckILm5EiEESD_Lm5ESE_iEENS8_INS9_ISB_SC_Lm4ESE_iEESI_SC_Lm5ESE_iEESJ_iiiiiiiii: ; @_ZN2at6native12_GLOBAL__N_143conv_depthwise3d_cuda_backward_input_kernelIN3c108BFloat16EfLi3ELi3ELi3ELi1ELi1ELi1ELin1ELin1ELin1EEEvN5torch10headeronly6detail27GenericPackedTensorAccessorINS7_14TensorAccessorINS3_8ArrayRefIlEEKT_Lm4ENS6_16DefaultPtrTraitsEiEENS_6detail16IndexBoundsCheckILm5EiEESD_Lm5ESE_iEENS8_INS9_ISB_SC_Lm4ESE_iEESI_SC_Lm5ESE_iEESJ_iiiiiiiii
; %bb.0:
	s_clause 0x2
	s_load_b128 s[44:47], s[0:1], 0x38
	s_load_b32 s2, s[0:1], 0xc4
	s_load_b64 s[60:61], s[0:1], 0x48
	v_mov_b32_e32 v1, 0
                                        ; implicit-def: $vgpr125 : SGPR spill to VGPR lane
	s_wait_kmcnt 0x0
	s_abs_i32 s76, s45
	s_and_b32 s2, s2, 0xffff
	s_cvt_f32_u32 s3, s76
	v_mad_co_u64_u32 v[0:1], null, s2, ttmp9, v[0:1]
	s_mul_i32 s4, s61, s44
	s_delay_alu instid0(SALU_CYCLE_1) | instskip(SKIP_4) | instid1(TRANS32_DEP_1)
	v_rcp_iflag_f32_e32 v2, s3
	s_ashr_i32 s5, s4, 31
	v_writelane_b32 v125, s4, 0
	v_cmp_gt_i64_e32 vcc_lo, s[4:5], v[0:1]
	v_writelane_b32 v125, s5, 1
	v_readfirstlane_b32 s3, v2
	s_and_saveexec_b32 s4, vcc_lo
	s_cbranch_execz .LBB28_62
; %bb.1:
	s_clause 0x1
	s_load_b128 s[48:51], s[0:1], 0xc
	s_load_b64 s[66:67], s[0:1], 0x0
	s_mul_f32 s3, s3, 0x4f7ffffe
	s_sub_co_i32 s8, 0, s76
	s_add_nc_u64 s[6:7], s[0:1], 0xb8
	s_mov_b32 s65, 0
	s_wait_alu 0xfffe
	s_cvt_u32_f32 s3, s3
	s_mov_b32 s5, s65
	s_ashr_i32 s9, s45, 31
	s_wait_alu 0xfffe
	s_mul_i32 s4, s8, s3
	v_writelane_b32 v125, s9, 2
	s_wait_alu 0xfffe
	s_mul_hi_u32 s4, s3, s4
	s_wait_alu 0xfffe
	s_add_co_i32 s4, s3, s4
	s_load_b64 s[68:69], s[0:1], 0xa0
	s_load_b32 s3, s[6:7], 0x0
	s_clause 0x5
	s_load_b128 s[52:55], s[0:1], 0x90
	s_load_b32 s10, s[0:1], 0x7c
	s_load_b64 s[70:71], s[0:1], 0x1c
	s_load_b64 s[72:73], s[0:1], 0x30
	;; [unrolled: 1-line block ×3, first 2 shown]
	s_load_b128 s[56:59], s[0:1], 0x50
	s_wait_kmcnt 0x0
	s_abs_i32 s64, s48
	s_delay_alu instid0(SALU_CYCLE_1)
	s_mul_u64 s[4:5], s[64:65], s[4:5]
	s_ashr_i32 s4, s48, 31
	s_wait_alu 0xfffe
	s_mul_i32 s6, s5, s76
	s_xor_b32 s4, s4, s9
	s_sub_co_i32 s6, s64, s6
	s_add_co_i32 s7, s5, 1
	s_sub_co_i32 s9, s6, s76
	s_cmp_ge_u32 s6, s76
	s_cselect_b32 s5, s7, s5
	s_wait_alu 0xfffe
	s_cselect_b32 s6, s9, s6
	s_add_co_i32 s7, s5, 1
	s_cmp_ge_u32 s6, s76
	s_mul_i32 s1, s3, s2
	v_writelane_b32 v125, s10, 3
	s_cselect_b32 s5, s7, s5
	v_readfirstlane_b32 s6, v2
	s_wait_alu 0xfffe
	s_xor_b32 s5, s5, s4
	s_wait_alu 0xfffe
	s_sub_co_i32 s64, s5, s4
	v_writelane_b32 v125, s1, 4
	s_cmp_gt_i32 s64, 0
	s_mul_f32 s0, s6, 0x4f7ffffe
	s_cselect_b32 s1, -1, 0
	s_abs_i32 s81, s60
	s_wait_alu 0xfffe
	v_writelane_b32 v125, s1, 5
	s_ashr_i32 s1, s60, 31
	s_abs_i32 s83, s47
	s_abs_i32 s85, s46
	s_cvt_f32_u32 s2, s83
	s_wait_alu 0xfffe
	v_writelane_b32 v125, s1, 6
	s_ashr_i32 s1, s47, 31
	s_abs_i32 s86, s52
	v_rcp_iflag_f32_e32 v3, s2
	s_cvt_f32_u32 s3, s85
	s_wait_alu 0xfffe
	v_writelane_b32 v125, s1, 7
	s_ashr_i32 s1, s46, 31
	s_sub_co_i32 s2, 0, s81
	v_rcp_iflag_f32_e32 v4, s3
	s_abs_i32 s87, s53
	s_wait_alu 0xfffe
	v_writelane_b32 v125, s1, 8
	s_cvt_f32_u32 s1, s81
	s_sub_co_i32 s3, 0, s83
	v_readfirstlane_b32 s5, v3
	s_abs_i32 s88, s54
	s_wait_alu 0xfffe
	v_rcp_iflag_f32_e32 v2, s1
	s_cvt_f32_u32 s1, s86
	s_cvt_f32_u32 s7, s87
	v_readfirstlane_b32 s6, v4
	s_mul_f32 s5, s5, 0x4f7ffffe
	s_wait_alu 0xfffe
	v_rcp_iflag_f32_e32 v5, s1
	s_cvt_f32_u32 s9, s88
	s_sub_co_i32 s4, 0, s85
	s_cvt_u32_f32 s5, s5
	s_mul_f32 s6, s6, 0x4f7ffffe
	v_readfirstlane_b32 s1, v2
	v_rcp_iflag_f32_e32 v2, s7
	s_wait_alu 0xfffe
	s_mul_i32 s3, s3, s5
	s_cvt_u32_f32 s6, s6
	s_wait_alu 0xfffe
	s_mul_hi_u32 s3, s5, s3
	s_mul_f32 s1, s1, 0x4f7ffffe
	v_readfirstlane_b32 s7, v5
	s_mul_i32 s4, s4, s6
	s_cvt_u32_f32 s0, s0
	s_wait_alu 0xfffe
	s_cvt_u32_f32 s1, s1
	v_rcp_iflag_f32_e32 v3, s9
	s_ashr_i32 s93, s52, 31
	s_mul_i32 s8, s8, s0
	s_wait_alu 0xfffe
	s_mul_i32 s2, s2, s1
	s_ashr_i32 s95, s53, 31
	s_wait_alu 0xfffe
	s_mul_hi_u32 s2, s1, s2
	s_ashr_i32 s97, s54, 31
	s_wait_alu 0xfffe
	s_add_co_i32 s1, s1, s2
	s_mul_f32 s2, s7, 0x4f7ffffe
	s_wait_alu 0xfffe
	v_writelane_b32 v125, s1, 9
	s_add_co_i32 s1, s5, s3
	s_sub_co_i32 s3, 0, s86
	s_cvt_u32_f32 s2, s2
	s_wait_alu 0xfffe
	v_writelane_b32 v125, s1, 10
	s_mul_hi_u32 s1, s6, s4
	v_readfirstlane_b32 s4, v2
	s_wait_alu 0xfffe
	s_add_co_i32 s1, s6, s1
	s_mul_i32 s3, s3, s2
	s_wait_alu 0xfffe
	v_writelane_b32 v125, s1, 11
	s_mul_hi_u32 s1, s0, s8
	s_wait_alu 0xfffe
	s_add_co_i32 s0, s0, s1
	s_mul_hi_u32 s1, s2, s3
	s_wait_alu 0xfffe
	v_writelane_b32 v125, s0, 12
	v_readfirstlane_b32 s0, v3
	s_mul_f32 s3, s4, 0x4f7ffffe
	s_add_co_i32 s94, s2, s1
	s_sub_co_i32 s2, 0, s87
	s_mul_f32 s0, s0, 0x4f7ffffe
	s_wait_alu 0xfffe
	s_cvt_u32_f32 s1, s3
	s_sub_co_i32 s3, 0, s88
	s_cvt_u32_f32 s0, s0
	s_wait_alu 0xfffe
	s_mul_i32 s2, s2, s1
	s_wait_alu 0xfffe
	s_mul_hi_u32 s2, s1, s2
	s_mul_i32 s3, s3, s0
	s_wait_alu 0xfffe
	s_add_co_i32 s96, s1, s2
	s_mul_hi_u32 s1, s0, s3
	s_wait_alu 0xfffe
	s_add_co_i32 s98, s0, s1
	s_branch .LBB28_4
.LBB28_2:                               ;   in Loop: Header=BB28_4 Depth=1
	s_or_b32 exec_lo, exec_lo, s99
.LBB28_3:                               ;   in Loop: Header=BB28_4 Depth=1
	v_mul_lo_u32 v2, v63, s61
	v_mul_lo_u32 v4, s56, v64
	s_delay_alu instid0(VALU_DEP_3)
	v_bfe_u32 v5, v69, 16, 1
	v_mul_lo_u32 v6, s57, v62
	v_mul_lo_u32 v8, s58, v61
	;; [unrolled: 1-line block ×3, first 2 shown]
	v_readlane_b32 s0, v125, 4
	v_add3_u32 v12, v69, v5, 0x7fff
	v_ashrrev_i32_e32 v3, 31, v2
	v_ashrrev_i32_e32 v5, 31, v4
	;; [unrolled: 1-line block ×3, first 2 shown]
	s_delay_alu instid0(VALU_DEP_4) | instskip(NEXT) | instid1(VALU_DEP_4)
	v_lshrrev_b32_e32 v12, 16, v12
	v_lshlrev_b64_e32 v[2:3], 1, v[2:3]
	s_delay_alu instid0(VALU_DEP_4) | instskip(SKIP_2) | instid1(VALU_DEP_4)
	v_lshlrev_b64_e32 v[4:5], 1, v[4:5]
	v_ashrrev_i32_e32 v9, 31, v8
	v_ashrrev_i32_e32 v11, 31, v10
	v_add_co_u32 v13, vcc_lo, s72, v2
	s_wait_alu 0xfffd
	v_add_co_ci_u32_e64 v14, null, s73, v3, vcc_lo
	v_lshlrev_b64_e32 v[2:3], 1, v[6:7]
	s_delay_alu instid0(VALU_DEP_3) | instskip(SKIP_1) | instid1(VALU_DEP_3)
	v_add_co_u32 v4, vcc_lo, v13, v4
	s_wait_alu 0xfffd
	v_add_co_ci_u32_e64 v5, null, v14, v5, vcc_lo
	v_cmp_o_f32_e32 vcc_lo, v69, v69
	s_wait_alu 0xfffd
	v_cndmask_b32_e32 v6, 0x7fc0, v12, vcc_lo
	v_add_co_u32 v7, vcc_lo, v4, v2
	s_wait_alu 0xfffd
	v_add_co_ci_u32_e64 v12, null, v5, v3, vcc_lo
	v_lshlrev_b64_e32 v[2:3], 1, v[8:9]
	s_wait_alu 0xf1ff
	v_add_co_u32 v0, vcc_lo, v0, s0
	v_readlane_b32 s0, v125, 0
	v_lshlrev_b64_e32 v[4:5], 1, v[10:11]
	s_wait_alu 0xfffd
	v_add_co_ci_u32_e64 v1, null, 0, v1, vcc_lo
	v_readlane_b32 s1, v125, 1
	v_add_co_u32 v2, vcc_lo, v7, v2
	s_wait_alu 0xfffd
	v_add_co_ci_u32_e64 v3, null, v12, v3, vcc_lo
	s_wait_alu 0xf1ff
	v_cmp_le_i64_e32 vcc_lo, s[0:1], v[0:1]
	v_add_co_u32 v2, s0, v2, v4
	s_wait_alu 0xf1ff
	v_add_co_ci_u32_e64 v3, null, v3, v5, s0
	s_or_b32 s65, vcc_lo, s65
	global_store_b16 v[2:3], v6, off
	s_wait_alu 0xfffe
	s_and_not1_b32 exec_lo, exec_lo, s65
	s_cbranch_execz .LBB28_62
.LBB28_4:                               ; =>This Loop Header: Depth=1
                                        ;     Child Loop BB28_7 Depth 2
	v_sub_nc_u32_e32 v2, 0, v0
	v_readlane_b32 s0, v125, 9
	s_delay_alu instid0(VALU_DEP_2) | instskip(SKIP_1) | instid1(VALU_DEP_1)
	v_max_i32_e32 v2, v0, v2
	s_wait_alu 0xf1ff
	v_mul_hi_u32 v3, v2, s0
	v_readlane_b32 s0, v125, 6
	s_delay_alu instid0(VALU_DEP_2) | instskip(NEXT) | instid1(VALU_DEP_1)
	v_mul_lo_u32 v4, v3, s81
	v_sub_nc_u32_e32 v2, v2, v4
	v_add_nc_u32_e32 v4, 1, v3
	s_delay_alu instid0(VALU_DEP_2) | instskip(SKIP_2) | instid1(VALU_DEP_2)
	v_subrev_nc_u32_e32 v5, s81, v2
	v_cmp_le_u32_e32 vcc_lo, s81, v2
	s_wait_alu 0xfffd
	v_dual_cndmask_b32 v3, v3, v4 :: v_dual_cndmask_b32 v2, v2, v5
	v_ashrrev_i32_e32 v4, 31, v0
	s_delay_alu instid0(VALU_DEP_2) | instskip(NEXT) | instid1(VALU_DEP_3)
	v_add_nc_u32_e32 v5, 1, v3
	v_cmp_le_u32_e32 vcc_lo, s81, v2
	s_wait_alu 0xf1ff
	s_delay_alu instid0(VALU_DEP_3) | instskip(SKIP_3) | instid1(VALU_DEP_1)
	v_xor_b32_e32 v4, s0, v4
	v_readlane_b32 s0, v125, 10
	s_wait_alu 0xfffd
	v_cndmask_b32_e32 v2, v3, v5, vcc_lo
	v_xor_b32_e32 v2, v2, v4
	s_delay_alu instid0(VALU_DEP_1) | instskip(NEXT) | instid1(VALU_DEP_1)
	v_sub_nc_u32_e32 v2, v2, v4
	v_sub_nc_u32_e32 v3, 0, v2
	s_delay_alu instid0(VALU_DEP_1) | instskip(SKIP_1) | instid1(VALU_DEP_1)
	v_max_i32_e32 v3, v2, v3
	s_wait_alu 0xf1ff
	v_mul_hi_u32 v4, v3, s0
	v_readlane_b32 s0, v125, 7
	s_delay_alu instid0(VALU_DEP_2) | instskip(NEXT) | instid1(VALU_DEP_1)
	v_mul_lo_u32 v5, v4, s83
	v_sub_nc_u32_e32 v3, v3, v5
	v_add_nc_u32_e32 v5, 1, v4
	s_delay_alu instid0(VALU_DEP_2) | instskip(SKIP_2) | instid1(VALU_DEP_2)
	v_subrev_nc_u32_e32 v6, s83, v3
	v_cmp_le_u32_e32 vcc_lo, s83, v3
	s_wait_alu 0xfffd
	v_dual_cndmask_b32 v4, v4, v5 :: v_dual_cndmask_b32 v3, v3, v6
	v_ashrrev_i32_e32 v5, 31, v2
	s_delay_alu instid0(VALU_DEP_2) | instskip(NEXT) | instid1(VALU_DEP_3)
	v_add_nc_u32_e32 v6, 1, v4
	v_cmp_le_u32_e32 vcc_lo, s83, v3
	s_wait_alu 0xf1ff
	s_delay_alu instid0(VALU_DEP_3) | instskip(SKIP_3) | instid1(VALU_DEP_1)
	v_xor_b32_e32 v5, s0, v5
	v_readlane_b32 s0, v125, 11
	s_wait_alu 0xfffd
	v_cndmask_b32_e32 v3, v4, v6, vcc_lo
	v_xor_b32_e32 v3, v3, v5
	s_delay_alu instid0(VALU_DEP_1) | instskip(NEXT) | instid1(VALU_DEP_1)
	v_sub_nc_u32_e32 v3, v3, v5
	v_sub_nc_u32_e32 v4, 0, v3
	s_delay_alu instid0(VALU_DEP_1) | instskip(SKIP_1) | instid1(VALU_DEP_1)
	;; [unrolled: 28-line block ×3, first 2 shown]
	v_max_i32_e32 v5, v4, v5
	s_wait_alu 0xf1ff
	v_mul_hi_u32 v6, v5, s0
	v_readlane_b32 s0, v125, 2
	s_delay_alu instid0(VALU_DEP_2) | instskip(NEXT) | instid1(VALU_DEP_1)
	v_mul_lo_u32 v7, v6, s76
	v_sub_nc_u32_e32 v5, v5, v7
	v_add_nc_u32_e32 v7, 1, v6
	s_delay_alu instid0(VALU_DEP_2) | instskip(SKIP_2) | instid1(VALU_DEP_2)
	v_subrev_nc_u32_e32 v8, s76, v5
	v_cmp_le_u32_e32 vcc_lo, s76, v5
	s_wait_alu 0xfffd
	v_dual_cndmask_b32 v6, v6, v7 :: v_dual_cndmask_b32 v5, v5, v8
	v_ashrrev_i32_e32 v7, 31, v4
	s_delay_alu instid0(VALU_DEP_2) | instskip(NEXT) | instid1(VALU_DEP_3)
	v_add_nc_u32_e32 v8, 1, v6
	v_cmp_le_u32_e32 vcc_lo, s76, v5
	s_wait_alu 0xf1ff
	s_delay_alu instid0(VALU_DEP_3)
	v_xor_b32_e32 v7, s0, v7
	v_readlane_b32 s0, v125, 5
	s_wait_alu 0xfffd
	v_cndmask_b32_e32 v5, v6, v8, vcc_lo
	v_mul_lo_u32 v6, v3, s47
	s_and_not1_b32 vcc_lo, exec_lo, s0
	s_delay_alu instid0(VALU_DEP_2) | instskip(NEXT) | instid1(VALU_DEP_2)
	v_xor_b32_e32 v5, v5, v7
	v_sub_nc_u32_e32 v61, v2, v6
	s_delay_alu instid0(VALU_DEP_2) | instskip(SKIP_2) | instid1(VALU_DEP_3)
	v_sub_nc_u32_e32 v63, v5, v7
	v_mul_lo_u32 v5, v2, s60
	v_mul_lo_u32 v7, v4, s46
	;; [unrolled: 1-line block ×3, first 2 shown]
	s_delay_alu instid0(VALU_DEP_3) | instskip(NEXT) | instid1(VALU_DEP_3)
	v_sub_nc_u32_e32 v60, v0, v5
	v_sub_nc_u32_e32 v62, v3, v7
	s_delay_alu instid0(VALU_DEP_3)
	v_sub_nc_u32_e32 v64, v4, v8
	s_wait_alu 0xfffe
	s_cbranch_vccnz .LBB28_61
; %bb.5:                                ;   in Loop: Header=BB28_4 Depth=1
	v_add_nc_u32_e32 v6, s69, v60
	v_add_nc_u32_e32 v15, s68, v61
	v_mul_lo_u32 v65, v64, s64
	v_readlane_b32 s0, v125, 3
	s_mov_b32 s99, 0
	v_sub_nc_u32_e32 v2, 0, v6
	v_sub_nc_u32_e32 v3, 1, v6
	s_delay_alu instid0(VALU_DEP_2) | instskip(NEXT) | instid1(VALU_DEP_1)
	v_max_i32_e32 v2, v6, v2
	v_mul_hi_u32 v4, v2, s98
	s_delay_alu instid0(VALU_DEP_1) | instskip(NEXT) | instid1(VALU_DEP_1)
	v_mul_lo_u32 v8, v4, s88
	v_sub_nc_u32_e32 v8, v2, v8
	s_wait_alu 0xf1ff
	v_mul_lo_u32 v2, s0, v65
	s_delay_alu instid0(VALU_DEP_2) | instskip(SKIP_2) | instid1(VALU_DEP_1)
	v_cmp_le_u32_e32 vcc_lo, s88, v8
	v_add_nc_u32_e32 v13, 1, v4
	s_wait_alu 0xfffd
	v_dual_cndmask_b32 v4, v4, v13 :: v_dual_add_nc_u32 v7, -1, v6
	s_delay_alu instid0(VALU_DEP_1) | instskip(SKIP_1) | instid1(VALU_DEP_2)
	v_max_i32_e32 v3, v7, v3
	v_ashrrev_i32_e32 v14, 31, v7
	v_mul_hi_u32 v5, v3, s98
	s_delay_alu instid0(VALU_DEP_1) | instskip(NEXT) | instid1(VALU_DEP_1)
	v_mul_lo_u32 v9, v5, s88
	v_sub_nc_u32_e32 v3, v3, v9
	v_subrev_nc_u32_e32 v9, s88, v8
	s_delay_alu instid0(VALU_DEP_2) | instskip(NEXT) | instid1(VALU_DEP_2)
	v_subrev_nc_u32_e32 v13, s88, v3
	v_cndmask_b32_e32 v8, v8, v9, vcc_lo
	v_add_nc_u32_e32 v9, 1, v5
	v_cmp_le_u32_e32 vcc_lo, s88, v3
	s_wait_alu 0xfffd
	v_cndmask_b32_e32 v13, v3, v13, vcc_lo
	v_sub_nc_u32_e32 v12, 2, v6
	v_add_nc_u32_e32 v3, 1, v4
	v_cndmask_b32_e32 v5, v5, v9, vcc_lo
	v_cmp_le_u32_e32 vcc_lo, s88, v8
	v_add_nc_u32_e32 v11, -2, v6
	v_ashrrev_i32_e32 v10, 31, v6
	v_xor_b32_e32 v8, s97, v14
	v_add_nc_u32_e32 v14, 1, v5
	s_wait_alu 0xfffd
	v_cndmask_b32_e32 v4, v4, v3, vcc_lo
	v_max_i32_e32 v12, v11, v12
	v_xor_b32_e32 v10, s97, v10
	v_cmp_le_u32_e32 vcc_lo, s88, v13
	v_ashrrev_i32_e32 v3, 31, v2
	s_delay_alu instid0(VALU_DEP_4) | instskip(NEXT) | instid1(VALU_DEP_4)
	v_mul_hi_u32 v9, v12, s98
	v_xor_b32_e32 v4, v4, v10
	s_wait_alu 0xfffd
	v_cndmask_b32_e32 v5, v5, v14, vcc_lo
	v_lshlrev_b64_e32 v[2:3], 1, v[2:3]
	v_add_nc_u32_e32 v14, -1, v15
	v_sub_nc_u32_e32 v4, v4, v10
	s_delay_alu instid0(VALU_DEP_4) | instskip(SKIP_2) | instid1(VALU_DEP_4)
	v_xor_b32_e32 v5, v5, v8
	v_mul_lo_u32 v13, v9, s88
	v_add_co_u32 v2, vcc_lo, s74, v2
	v_mul_lo_u32 v10, v4, s54
	s_delay_alu instid0(VALU_DEP_4)
	v_sub_nc_u32_e32 v5, v5, v8
	v_sub_nc_u32_e32 v8, 1, v15
	s_wait_alu 0xfffd
	v_add_co_ci_u32_e64 v3, null, s75, v3, vcc_lo
	v_sub_nc_u32_e32 v12, v12, v13
	v_add_nc_u32_e32 v13, 1, v9
	v_max_i32_e32 v8, v14, v8
	v_cmp_eq_u32_e64 s12, v10, v6
	v_mul_lo_u32 v10, v5, s54
	v_cmp_le_u32_e32 vcc_lo, s88, v12
	v_subrev_nc_u32_e32 v6, s88, v12
	v_cmp_gt_i32_e64 s42, s51, v4
	v_cmp_gt_i32_e64 s43, s51, v5
	s_wait_alu 0xfffd
	v_cndmask_b32_e32 v9, v9, v13, vcc_lo
	v_mul_hi_u32 v13, v8, s96
	v_cndmask_b32_e32 v6, v12, v6, vcc_lo
	v_cmp_eq_u32_e64 s9, v10, v7
	v_ashrrev_i32_e32 v7, 31, v11
	v_add_nc_u32_e32 v10, 1, v9
	v_sub_nc_u32_e32 v12, 0, v15
	v_cmp_le_u32_e32 vcc_lo, s88, v6
	v_mul_lo_u32 v6, v13, s87
	v_xor_b32_e32 v7, s97, v7
	s_delay_alu instid0(VALU_DEP_4) | instskip(SKIP_2) | instid1(VALU_DEP_2)
	v_max_i32_e32 v12, v15, v12
	s_wait_alu 0xfffd
	v_cndmask_b32_e32 v9, v9, v10, vcc_lo
	v_mul_hi_u32 v10, v12, s96
	s_delay_alu instid0(VALU_DEP_2) | instskip(SKIP_1) | instid1(VALU_DEP_2)
	v_xor_b32_e32 v9, v9, v7
	v_sub_nc_u32_e32 v8, v8, v6
	v_sub_nc_u32_e32 v6, v9, v7
	s_delay_alu instid0(VALU_DEP_2) | instskip(SKIP_3) | instid1(VALU_DEP_3)
	v_subrev_nc_u32_e32 v9, s87, v8
	v_cmp_le_u32_e32 vcc_lo, s87, v8
	v_mul_lo_u32 v7, v10, s87
	s_wait_alu 0xfffd
	v_cndmask_b32_e32 v8, v8, v9, vcc_lo
	v_mul_lo_u32 v9, v6, s54
	s_delay_alu instid0(VALU_DEP_3) | instskip(NEXT) | instid1(VALU_DEP_3)
	v_sub_nc_u32_e32 v7, v12, v7
	v_cmp_le_u32_e64 s0, s87, v8
	v_ashrrev_i32_e32 v8, 31, v14
	s_delay_alu instid0(VALU_DEP_4) | instskip(SKIP_4) | instid1(VALU_DEP_3)
	v_cmp_eq_u32_e64 s14, v9, v11
	v_add_nc_u32_e32 v11, 1, v10
	v_add_nc_u32_e32 v12, 1, v13
	v_subrev_nc_u32_e32 v9, s87, v7
	v_xor_b32_e32 v8, s95, v8
	v_cndmask_b32_e32 v12, v13, v12, vcc_lo
	v_cmp_le_u32_e32 vcc_lo, s87, v7
	s_delay_alu instid0(VALU_DEP_2)
	v_add_nc_u32_e32 v13, 1, v12
	s_wait_alu 0xfffd
	v_cndmask_b32_e32 v7, v7, v9, vcc_lo
	v_cndmask_b32_e32 v9, v10, v11, vcc_lo
	v_add_nc_u32_e32 v10, -2, v15
	v_sub_nc_u32_e32 v11, 2, v15
	s_wait_alu 0xf1ff
	v_cndmask_b32_e64 v12, v12, v13, s0
	v_cmp_le_u32_e32 vcc_lo, s87, v7
	v_ashrrev_i32_e32 v7, 31, v15
	v_add_nc_u32_e32 v13, 1, v9
	v_max_i32_e32 v11, v10, v11
	v_xor_b32_e32 v12, v12, v8
	s_delay_alu instid0(VALU_DEP_4) | instskip(NEXT) | instid1(VALU_DEP_2)
	v_xor_b32_e32 v16, s95, v7
	v_sub_nc_u32_e32 v7, v12, v8
	s_delay_alu instid0(VALU_DEP_1)
	v_mul_lo_u32 v12, v7, s53
	v_cmp_gt_i32_e64 s35, s50, v7
	s_and_b32 s89, s42, s35
	s_and_b32 s90, s43, s35
	v_cmp_eq_u32_e64 s23, v12, v14
	s_wait_alu 0xfffd
	v_dual_cndmask_b32 v9, v9, v13 :: v_dual_add_nc_u32 v14, s55, v62
	v_mul_hi_u32 v13, v11, s96
	s_delay_alu instid0(VALU_DEP_2) | instskip(NEXT) | instid1(VALU_DEP_2)
	v_xor_b32_e32 v8, v9, v16
	v_mul_lo_u32 v9, v13, s87
	s_delay_alu instid0(VALU_DEP_2) | instskip(NEXT) | instid1(VALU_DEP_1)
	v_sub_nc_u32_e32 v8, v8, v16
	v_cmp_gt_i32_e64 s34, s50, v8
	s_delay_alu instid0(VALU_DEP_3) | instskip(SKIP_3) | instid1(VALU_DEP_2)
	v_sub_nc_u32_e32 v9, v11, v9
	v_mul_lo_u32 v11, v8, s53
	s_and_b32 s77, s42, s34
	s_and_b32 s82, s43, s34
	v_subrev_nc_u32_e32 v12, s87, v9
	v_cmp_le_u32_e32 vcc_lo, s87, v9
	s_delay_alu instid0(VALU_DEP_3) | instskip(SKIP_4) | instid1(VALU_DEP_3)
	v_cmp_eq_u32_e64 s20, v11, v15
	v_add_nc_u32_e32 v11, 1, v13
	s_wait_alu 0xfffd
	v_dual_cndmask_b32 v9, v9, v12 :: v_dual_add_nc_u32 v12, -1, v14
	v_sub_nc_u32_e32 v15, 1, v14
	v_cndmask_b32_e32 v11, v13, v11, vcc_lo
	s_delay_alu instid0(VALU_DEP_3) | instskip(NEXT) | instid1(VALU_DEP_3)
	v_cmp_le_u32_e32 vcc_lo, s87, v9
	v_max_i32_e32 v13, v12, v15
	s_delay_alu instid0(VALU_DEP_3) | instskip(NEXT) | instid1(VALU_DEP_2)
	v_add_nc_u32_e32 v15, 1, v11
	v_mul_hi_u32 v16, v13, s94
	s_wait_alu 0xfffd
	s_delay_alu instid0(VALU_DEP_2) | instskip(NEXT) | instid1(VALU_DEP_2)
	v_cndmask_b32_e32 v9, v11, v15, vcc_lo
	v_mul_lo_u32 v11, v16, s86
	s_delay_alu instid0(VALU_DEP_1) | instskip(SKIP_1) | instid1(VALU_DEP_2)
	v_sub_nc_u32_e32 v11, v13, v11
	v_ashrrev_i32_e32 v13, 31, v10
	v_cmp_le_u32_e32 vcc_lo, s86, v11
	s_delay_alu instid0(VALU_DEP_2) | instskip(NEXT) | instid1(VALU_DEP_1)
	v_xor_b32_e32 v13, s95, v13
	v_xor_b32_e32 v9, v9, v13
	s_delay_alu instid0(VALU_DEP_1) | instskip(SKIP_1) | instid1(VALU_DEP_2)
	v_sub_nc_u32_e32 v9, v9, v13
	v_subrev_nc_u32_e32 v13, s86, v11
	v_mul_lo_u32 v15, v9, s53
	s_wait_alu 0xfffd
	s_delay_alu instid0(VALU_DEP_2) | instskip(SKIP_2) | instid1(VALU_DEP_2)
	v_cndmask_b32_e32 v11, v11, v13, vcc_lo
	v_add_nc_u32_e32 v13, 1, v16
	v_cmp_gt_i32_e64 s37, s50, v9
	v_cndmask_b32_e32 v13, v16, v13, vcc_lo
	v_cmp_eq_u32_e64 s26, v15, v10
	v_sub_nc_u32_e32 v15, 0, v14
	v_cmp_le_u32_e32 vcc_lo, s86, v11
	v_ashrrev_i32_e32 v11, 31, v12
	v_add_nc_u32_e32 v10, 1, v13
	s_and_b32 s92, s42, s37
	v_max_i32_e32 v15, v14, v15
	s_and_b32 s62, s43, s37
	v_xor_b32_e32 v11, s93, v11
	s_wait_alu 0xfffd
	v_cndmask_b32_e32 v10, v13, v10, vcc_lo
	v_mul_hi_u32 v13, v15, s94
	s_delay_alu instid0(VALU_DEP_2) | instskip(NEXT) | instid1(VALU_DEP_1)
	v_xor_b32_e32 v10, v10, v11
	v_sub_nc_u32_e32 v16, v10, v11
	s_delay_alu instid0(VALU_DEP_3) | instskip(NEXT) | instid1(VALU_DEP_2)
	v_mul_lo_u32 v10, v13, s86
	v_mul_lo_u32 v11, v16, s52
	v_cmp_gt_i32_e64 s36, s49, v16
	s_delay_alu instid0(VALU_DEP_3) | instskip(NEXT) | instid1(VALU_DEP_3)
	v_sub_nc_u32_e32 v10, v15, v10
	v_cmp_eq_u32_e64 s17, v11, v12
	s_delay_alu instid0(VALU_DEP_2)
	v_subrev_nc_u32_e32 v11, s86, v10
	v_add_nc_u32_e32 v12, 1, v13
	v_cmp_le_u32_e32 vcc_lo, s86, v10
	s_and_b32 s78, s17, s23
	s_and_b32 s80, s17, s26
	s_wait_alu 0xfffd
	v_dual_cndmask_b32 v10, v10, v11 :: v_dual_cndmask_b32 v11, v13, v12
	v_add_nc_u32_e32 v12, -2, v14
	v_sub_nc_u32_e32 v13, 2, v14
	s_delay_alu instid0(VALU_DEP_3) | instskip(NEXT) | instid1(VALU_DEP_2)
	v_cmp_le_u32_e32 vcc_lo, s86, v10
	v_max_i32_e32 v13, v12, v13
	s_delay_alu instid0(VALU_DEP_1) | instskip(NEXT) | instid1(VALU_DEP_1)
	v_mul_hi_u32 v15, v13, s94
	v_mul_lo_u32 v17, v15, s86
	s_delay_alu instid0(VALU_DEP_1) | instskip(SKIP_2) | instid1(VALU_DEP_1)
	v_sub_nc_u32_e32 v13, v13, v17
	v_add_nc_u32_e32 v17, 1, v11
	s_wait_alu 0xfffd
	v_cndmask_b32_e32 v10, v11, v17, vcc_lo
	s_delay_alu instid0(VALU_DEP_3) | instskip(SKIP_2) | instid1(VALU_DEP_2)
	v_subrev_nc_u32_e32 v11, s86, v13
	v_cmp_le_u32_e32 vcc_lo, s86, v13
	s_wait_alu 0xfffd
	v_cndmask_b32_e32 v11, v13, v11, vcc_lo
	v_add_nc_u32_e32 v13, 1, v15
	s_delay_alu instid0(VALU_DEP_1) | instskip(SKIP_1) | instid1(VALU_DEP_4)
	v_cndmask_b32_e32 v13, v15, v13, vcc_lo
	v_ashrrev_i32_e32 v15, 31, v14
	v_cmp_le_u32_e32 vcc_lo, s86, v11
	v_ashrrev_i32_e32 v11, 31, v12
	s_delay_alu instid0(VALU_DEP_3) | instskip(NEXT) | instid1(VALU_DEP_2)
	v_xor_b32_e32 v15, s93, v15
	v_xor_b32_e32 v11, s93, v11
	s_delay_alu instid0(VALU_DEP_2) | instskip(NEXT) | instid1(VALU_DEP_1)
	v_xor_b32_e32 v10, v10, v15
	v_sub_nc_u32_e32 v15, v10, v15
	v_add_nc_u32_e32 v10, 1, v13
	s_delay_alu instid0(VALU_DEP_2) | instskip(SKIP_1) | instid1(VALU_DEP_2)
	v_cmp_gt_i32_e64 s33, s49, v15
	s_wait_alu 0xfffd
	v_cndmask_b32_e32 v10, v13, v10, vcc_lo
	s_delay_alu instid0(VALU_DEP_1) | instskip(NEXT) | instid1(VALU_DEP_1)
	v_xor_b32_e32 v10, v10, v11
	v_sub_nc_u32_e32 v13, v10, v11
	v_mul_lo_u32 v10, v15, s52
	s_delay_alu instid0(VALU_DEP_2) | instskip(NEXT) | instid1(VALU_DEP_2)
	v_cmp_gt_i32_e64 s28, s49, v13
	v_cmp_eq_u32_e64 s5, v10, v14
	v_mul_lo_u32 v10, v13, s52
	s_and_b32 s48, s5, s20
	s_delay_alu instid0(VALU_DEP_1) | instskip(SKIP_1) | instid1(VALU_DEP_1)
	v_cmp_eq_u32_e64 s27, v10, v12
	v_mul_lo_u32 v10, s70, v63
	v_ashrrev_i32_e32 v11, 31, v10
	s_delay_alu instid0(VALU_DEP_1) | instskip(NEXT) | instid1(VALU_DEP_1)
	v_lshlrev_b64_e32 v[10:11], 1, v[10:11]
	v_add_co_u32 v66, vcc_lo, s66, v10
	v_or_b32_e32 v10, v4, v8
	s_wait_alu 0xfffd
	s_delay_alu instid0(VALU_DEP_3) | instskip(NEXT) | instid1(VALU_DEP_2)
	v_add_co_ci_u32_e64 v67, null, s67, v11, vcc_lo
	v_or_b32_e32 v11, v10, v15
	s_delay_alu instid0(VALU_DEP_1) | instskip(SKIP_3) | instid1(VALU_DEP_1)
	v_cmp_lt_i32_e32 vcc_lo, -1, v11
	v_or_b32_e32 v11, v5, v8
	s_wait_alu 0xfffe
	s_and_b32 s44, s77, vcc_lo
	v_or_b32_e32 v12, v11, v15
	s_wait_alu 0xfffe
	s_and_b32 s100, s44, s33
	v_cmp_gt_i32_e64 s44, s51, v6
	s_and_b32 vcc_lo, s48, s12
	v_cmp_lt_i32_e64 s0, -1, v12
	v_or_b32_e32 v12, v6, v8
	s_and_b32 s84, s44, s34
	s_and_b32 s91, s44, s35
	s_and_b32 s63, s44, s37
	s_and_b32 s0, s82, s0
	v_or_b32_e32 v14, v12, v15
	s_wait_alu 0xfffe
	s_and_b32 s101, s0, s33
	s_and_b32 s0, s48, s9
	s_delay_alu instid0(VALU_DEP_1) | instskip(SKIP_2) | instid1(VALU_DEP_1)
	v_cmp_lt_i32_e64 s1, -1, v14
	v_or_b32_e32 v14, v4, v7
	s_and_b32 s1, s84, s1
	v_or_b32_e32 v17, v14, v15
	s_wait_alu 0xfffe
	s_and_b32 s34, s1, s33
	s_and_b32 s1, s48, s14
	s_and_b32 s48, s5, s23
	v_cmp_lt_i32_e64 s2, -1, v17
	v_or_b32_e32 v17, v5, v7
	s_and_b32 s2, s89, s2
	s_delay_alu instid0(VALU_DEP_1) | instskip(SKIP_3) | instid1(VALU_DEP_1)
	v_or_b32_e32 v18, v17, v15
	s_wait_alu 0xfffe
	s_and_b32 s102, s2, s33
	s_and_b32 s2, s48, s12
	v_cmp_lt_i32_e64 s3, -1, v18
	v_or_b32_e32 v18, v6, v7
	s_and_b32 s3, s90, s3
	s_delay_alu instid0(VALU_DEP_1) | instskip(SKIP_3) | instid1(VALU_DEP_1)
	v_or_b32_e32 v19, v18, v15
	s_wait_alu 0xfffe
	s_and_b32 s103, s3, s33
	s_and_b32 s3, s48, s9
	v_cmp_lt_i32_e64 s4, -1, v19
	v_or_b32_e32 v19, v4, v9
	s_and_b32 s4, s91, s4
	s_delay_alu instid0(VALU_DEP_1)
	v_or_b32_e32 v20, v19, v15
	s_wait_alu 0xfffe
	s_and_b32 s35, s4, s33
	s_and_b32 s4, s48, s14
	;; [unrolled: 1-line block ×4, first 2 shown]
	v_cmp_lt_i32_e64 s6, -1, v20
	v_or_b32_e32 v20, v5, v9
	s_wait_alu 0xfffe
	s_and_b32 s5, s48, s12
	s_and_b32 s6, s92, s6
	s_delay_alu instid0(VALU_DEP_1) | instskip(SKIP_2) | instid1(VALU_DEP_1)
	v_or_b32_e32 v21, v20, v15
	s_wait_alu 0xfffe
	s_and_b32 s42, s6, s33
	v_cmp_lt_i32_e64 s7, -1, v21
	v_or_b32_e32 v21, v6, v9
	s_and_b32 s6, s62, s7
	s_delay_alu instid0(VALU_DEP_1) | instskip(SKIP_3) | instid1(VALU_DEP_1)
	v_or_b32_e32 v22, v21, v15
	s_wait_alu 0xfffe
	s_and_b32 s43, s6, s33
	s_and_b32 s6, s48, s9
	v_cmp_lt_i32_e64 s30, -1, v22
	v_or_b32_e32 v22, v10, v16
	v_or_b32_e32 v10, v10, v13
	s_and_b32 s7, s63, s30
	s_delay_alu instid0(VALU_DEP_2) | instskip(SKIP_1) | instid1(VALU_DEP_3)
	v_cmp_lt_i32_e64 s11, -1, v22
	v_or_b32_e32 v22, v11, v16
	v_cmp_lt_i32_e64 s21, -1, v10
	v_or_b32_e32 v10, v11, v13
	v_or_b32_e32 v11, v18, v13
	s_and_b32 s11, s77, s11
	v_cmp_lt_i32_e64 s8, -1, v22
	v_or_b32_e32 v22, v12, v16
	v_cmp_lt_i32_e64 s22, -1, v10
	v_or_b32_e32 v10, v12, v13
	v_or_b32_e32 v12, v19, v13
	v_cmp_lt_i32_e64 s38, -1, v11
	v_cmp_lt_i32_e64 s10, -1, v22
	v_or_b32_e32 v22, v14, v16
	v_cmp_lt_i32_e64 s25, -1, v10
	v_or_b32_e32 v10, v14, v13
	v_or_b32_e32 v14, v20, v13
	s_wait_alu 0xfffe
	s_and_b32 s30, s7, s33
	v_cmp_lt_i32_e64 s16, -1, v22
	v_or_b32_e32 v22, v17, v16
	v_cmp_lt_i32_e64 s29, -1, v10
	v_or_b32_e32 v10, v17, v13
	s_and_b32 s33, s11, s36
	s_and_b32 s16, s89, s16
	v_cmp_lt_i32_e64 s13, -1, v22
	v_or_b32_e32 v22, v18, v16
	v_cmp_lt_i32_e64 s31, -1, v10
	v_mul_lo_u32 v10, v15, s50
	v_mul_lo_u32 v15, v16, s50
	s_and_b32 s11, s82, s8
	v_cmp_lt_i32_e64 s15, -1, v22
	v_or_b32_e32 v22, v19, v16
	s_wait_alu 0xfffe
	s_and_b32 s104, s16, s36
	s_and_b32 s16, s90, s13
	;; [unrolled: 1-line block ×3, first 2 shown]
	v_add_nc_u32_e32 v17, v8, v10
	v_cmp_lt_i32_e64 s24, -1, v22
	v_or_b32_e32 v22, v20, v16
	v_add_nc_u32_e32 v18, v7, v10
	v_add_nc_u32_e32 v19, v9, v10
	;; [unrolled: 1-line block ×4, first 2 shown]
	v_cmp_lt_i32_e64 s19, -1, v22
	v_or_b32_e32 v22, v21, v16
	v_or_b32_e32 v16, v21, v13
	v_mul_lo_u32 v13, v13, s50
	v_add_nc_u32_e32 v35, v9, v15
	v_mul_lo_u32 v11, v17, s51
	v_mul_lo_u32 v17, v18, s51
	;; [unrolled: 1-line block ×6, first 2 shown]
	v_add_nc_u32_e32 v41, v8, v13
	v_add_nc_u32_e32 v47, v7, v13
	;; [unrolled: 1-line block ×3, first 2 shown]
	v_cmp_lt_i32_e64 s18, -1, v22
	s_and_b32 s19, s62, s19
	v_mul_lo_u32 v48, v41, s51
	v_mul_lo_u32 v54, v47, s51
	;; [unrolled: 1-line block ×3, first 2 shown]
	v_add_nc_u32_e32 v7, v4, v11
	v_add_nc_u32_e32 v9, v5, v11
	;; [unrolled: 1-line block ×9, first 2 shown]
	s_and_b32 s48, s17, s20
	v_add_nc_u32_e32 v25, v4, v30
	s_and_b32 s37, s11, s36
	v_add_nc_u32_e32 v27, v5, v30
	;; [unrolled: 2-line block ×3, first 2 shown]
	v_add_nc_u32_e32 v31, v4, v36
	s_wait_alu 0xfffe
	s_and_b32 vcc_hi, s16, s36
	v_add_nc_u32_e32 v33, v5, v36
	s_and_b32 s16, s91, s15
	v_add_nc_u32_e32 v35, v6, v36
	s_and_b32 s24, s92, s24
	v_add_nc_u32_e32 v37, v4, v42
	s_and_b32 s79, s19, s36
	v_add_nc_u32_e32 v39, v5, v42
	s_and_b32 s19, s63, s18
	v_add_nc_u32_e32 v41, v6, v42
	s_and_b32 s21, s77, s21
	v_add_nc_u32_e32 v43, v4, v48
	v_add_nc_u32_e32 v45, v5, v48
	;; [unrolled: 1-line block ×8, first 2 shown]
	s_and_b32 s8, s48, s12
	s_and_b32 s10, s48, s9
	;; [unrolled: 1-line block ×6, first 2 shown]
	s_wait_alu 0xfffe
	s_and_b32 s48, s16, s36
	s_and_b32 s16, s78, s14
	s_and_b32 s78, s24, s36
	s_and_b32 s17, s80, s12
	s_and_b32 s18, s80, s9
	s_and_b32 s36, s19, s36
	s_and_b32 s19, s80, s14
	s_and_b32 s24, s27, s20
	s_and_b32 s80, s21, s28
	s_and_b32 s21, s82, s22
	s_and_b32 s22, s84, s25
	v_add_nc_u32_e32 v68, v6, v58
	s_wait_alu 0xfffe
	s_and_b32 s20, s24, s12
	s_and_b32 s77, s21, s28
	;; [unrolled: 1-line block ×6, first 2 shown]
	v_cmp_lt_i32_e64 s39, -1, v12
	v_cmp_lt_i32_e64 s40, -1, v14
	;; [unrolled: 1-line block ×3, first 2 shown]
	v_ashrrev_i32_e32 v8, 31, v7
	v_ashrrev_i32_e32 v10, 31, v9
	;; [unrolled: 1-line block ×26, first 2 shown]
	s_and_b32 s25, s27, s23
	s_wait_alu 0xfffe
	s_and_b32 s29, s24, s28
	s_and_b32 s24, s90, s31
	v_ashrrev_i32_e32 v69, 31, v68
	s_and_b32 s23, s25, s12
	s_wait_alu 0xfffe
	s_and_b32 s31, s24, s28
	s_and_b32 s24, s25, s9
	;; [unrolled: 1-line block ×6, first 2 shown]
	s_mul_i32 s26, s71, s64
	v_lshlrev_b64_e32 v[4:5], 1, v[7:8]
	v_lshlrev_b64_e32 v[6:7], 1, v[9:10]
	;; [unrolled: 1-line block ×26, first 2 shown]
	s_wait_alu 0xfffe
	v_mul_lo_u32 v58, s26, v64
	s_and_b32 s27, s62, s40
	v_lshlrev_b64_e32 v[56:57], 1, v[68:69]
	v_dual_mov_b32 v69, 0 :: v_dual_add_nc_u32 v68, s64, v65
	s_and_b32 s38, s91, s38
	s_and_b32 s39, s92, s39
	s_wait_alu 0xfffe
	s_and_b32 s40, s27, s28
	s_and_b32 s27, s63, s41
	;; [unrolled: 1-line block ×4, first 2 shown]
	s_wait_alu 0xfffe
	s_and_b32 s28, s27, s28
	s_branch .LBB28_7
.LBB28_6:                               ;   in Loop: Header=BB28_7 Depth=2
	s_wait_alu 0xfffe
	s_or_b32 exec_lo, exec_lo, s27
	s_wait_loadcnt 0x1a
	v_lshlrev_b32_e32 v70, 16, v70
	v_add_nc_u32_e32 v65, 1, v65
	v_add_co_u32 v2, s27, v2, 54
	s_wait_alu 0xf1ff
	v_add_co_ci_u32_e64 v3, null, 0, v3, s27
	v_fma_f32 v59, v59, v70, v69
	s_wait_loadcnt 0x5
	v_lshlrev_b32_e32 v70, 16, v114
	v_cmp_ge_i32_e64 s26, v65, v68
	s_delay_alu instid0(VALU_DEP_3) | instskip(SKIP_2) | instid1(VALU_DEP_1)
	v_dual_cndmask_b32 v59, v69, v59 :: v_dual_add_nc_u32 v58, s71, v58
	v_lshlrev_b32_e32 v69, 16, v73
	s_or_b32 s99, s26, s99
	v_fma_f32 v69, v75, v69, v59
	s_delay_alu instid0(VALU_DEP_1) | instskip(SKIP_1) | instid1(VALU_DEP_1)
	v_cndmask_b32_e64 v59, v59, v69, s0
	v_lshlrev_b32_e32 v69, 16, v76
	v_fma_f32 v69, v74, v69, v59
	s_delay_alu instid0(VALU_DEP_1) | instskip(SKIP_1) | instid1(VALU_DEP_1)
	v_cndmask_b32_e64 v59, v59, v69, s1
	v_lshlrev_b32_e32 v69, 16, v77
	;; [unrolled: 4-line block ×19, first 2 shown]
	v_fma_f32 v69, v110, v69, v59
	s_delay_alu instid0(VALU_DEP_1) | instskip(NEXT) | instid1(VALU_DEP_1)
	v_cndmask_b32_e64 v59, v59, v69, s22
	v_fma_f32 v69, v115, v70, v59
	s_wait_loadcnt 0x4
	v_lshlrev_b32_e32 v70, 16, v116
	s_delay_alu instid0(VALU_DEP_2) | instskip(NEXT) | instid1(VALU_DEP_1)
	v_cndmask_b32_e64 v59, v59, v69, s23
	v_fma_f32 v69, v113, v70, v59
	s_wait_loadcnt 0x3
	v_lshlrev_b32_e32 v70, 16, v118
	s_delay_alu instid0(VALU_DEP_2) | instskip(NEXT) | instid1(VALU_DEP_1)
	;; [unrolled: 5-line block ×5, first 2 shown]
	v_cndmask_b32_e64 v59, v59, v69, s9
	v_fma_f32 v69, v121, v70, v59
	s_delay_alu instid0(VALU_DEP_1)
	v_cndmask_b32_e64 v69, v59, v69, s14
	s_wait_alu 0xfffe
	s_and_not1_b32 exec_lo, exec_lo, s99
	s_cbranch_execz .LBB28_2
.LBB28_7:                               ;   Parent Loop BB28_4 Depth=1
                                        ; =>  This Inner Loop Header: Depth=2
	global_load_u16 v70, v[2:3], off
	v_ashrrev_i32_e32 v59, 31, v58
	s_delay_alu instid0(VALU_DEP_1) | instskip(SKIP_1) | instid1(VALU_DEP_2)
	v_lshlrev_b64_e32 v[71:72], 1, v[58:59]
	v_mov_b32_e32 v59, 0
	v_add_co_u32 v71, s26, v66, v71
	s_wait_alu 0xf1ff
	s_delay_alu instid0(VALU_DEP_3)
	v_add_co_ci_u32_e64 v72, null, v67, v72, s26
	s_and_saveexec_b32 s27, s100
	s_cbranch_execz .LBB28_9
; %bb.8:                                ;   in Loop: Header=BB28_7 Depth=2
	v_add_co_u32 v73, s26, v71, v4
	s_wait_alu 0xf1ff
	v_add_co_ci_u32_e64 v74, null, v72, v5, s26
	global_load_u16 v59, v[73:74], off
	s_wait_loadcnt 0x0
	v_lshlrev_b32_e32 v59, 16, v59
.LBB28_9:                               ;   in Loop: Header=BB28_7 Depth=2
	s_wait_alu 0xfffe
	s_or_b32 exec_lo, exec_lo, s27
	global_load_u16 v73, v[2:3], off offset:2
	v_dual_mov_b32 v74, 0 :: v_dual_mov_b32 v75, 0
	s_and_saveexec_b32 s27, s101
	s_cbranch_execz .LBB28_11
; %bb.10:                               ;   in Loop: Header=BB28_7 Depth=2
	v_add_co_u32 v75, s26, v71, v6
	s_wait_alu 0xf1ff
	v_add_co_ci_u32_e64 v76, null, v72, v7, s26
	global_load_u16 v75, v[75:76], off
	s_wait_loadcnt 0x0
	v_lshlrev_b32_e32 v75, 16, v75
.LBB28_11:                              ;   in Loop: Header=BB28_7 Depth=2
	s_wait_alu 0xfffe
	s_or_b32 exec_lo, exec_lo, s27
	global_load_u16 v76, v[2:3], off offset:4
	s_and_saveexec_b32 s27, s34
	s_cbranch_execz .LBB28_13
; %bb.12:                               ;   in Loop: Header=BB28_7 Depth=2
	v_add_co_u32 v77, s26, v71, v8
	s_wait_alu 0xf1ff
	v_add_co_ci_u32_e64 v78, null, v72, v9, s26
	global_load_u16 v74, v[77:78], off
	s_wait_loadcnt 0x0
	v_lshlrev_b32_e32 v74, 16, v74
.LBB28_13:                              ;   in Loop: Header=BB28_7 Depth=2
	s_wait_alu 0xfffe
	s_or_b32 exec_lo, exec_lo, s27
	global_load_u16 v77, v[2:3], off offset:6
	v_dual_mov_b32 v78, 0 :: v_dual_mov_b32 v79, 0
	s_and_saveexec_b32 s27, s102
	s_cbranch_execz .LBB28_15
; %bb.14:                               ;   in Loop: Header=BB28_7 Depth=2
	v_add_co_u32 v79, s26, v71, v10
	s_wait_alu 0xf1ff
	v_add_co_ci_u32_e64 v80, null, v72, v11, s26
	global_load_u16 v79, v[79:80], off
	s_wait_loadcnt 0x0
	v_lshlrev_b32_e32 v79, 16, v79
.LBB28_15:                              ;   in Loop: Header=BB28_7 Depth=2
	s_wait_alu 0xfffe
	s_or_b32 exec_lo, exec_lo, s27
	global_load_u16 v80, v[2:3], off offset:8
	s_and_saveexec_b32 s27, s103
	s_cbranch_execz .LBB28_17
; %bb.16:                               ;   in Loop: Header=BB28_7 Depth=2
	v_add_co_u32 v81, s26, v71, v12
	s_wait_alu 0xf1ff
	v_add_co_ci_u32_e64 v82, null, v72, v13, s26
	global_load_u16 v78, v[81:82], off
	s_wait_loadcnt 0x0
	v_lshlrev_b32_e32 v78, 16, v78
.LBB28_17:                              ;   in Loop: Header=BB28_7 Depth=2
	;; [unrolled: 27-line block ×6, first 2 shown]
	s_wait_alu 0xfffe
	s_or_b32 exec_lo, exec_lo, s27
	global_load_u16 v97, v[2:3], off offset:26
	v_dual_mov_b32 v98, 0 :: v_dual_mov_b32 v99, 0
	s_and_saveexec_b32 s27, vcc_hi
	s_cbranch_execz .LBB28_35
; %bb.34:                               ;   in Loop: Header=BB28_7 Depth=2
	v_add_co_u32 v99, s26, v71, v30
	s_wait_alu 0xf1ff
	v_add_co_ci_u32_e64 v100, null, v72, v31, s26
	global_load_u16 v99, v[99:100], off
	s_wait_loadcnt 0x0
	v_lshlrev_b32_e32 v99, 16, v99
.LBB28_35:                              ;   in Loop: Header=BB28_7 Depth=2
	s_wait_alu 0xfffe
	s_or_b32 exec_lo, exec_lo, s27
	global_load_u16 v100, v[2:3], off offset:28
	s_and_saveexec_b32 s27, s48
	s_cbranch_execz .LBB28_37
; %bb.36:                               ;   in Loop: Header=BB28_7 Depth=2
	v_add_co_u32 v101, s26, v71, v32
	s_wait_alu 0xf1ff
	v_add_co_ci_u32_e64 v102, null, v72, v33, s26
	global_load_u16 v98, v[101:102], off
	s_wait_loadcnt 0x0
	v_lshlrev_b32_e32 v98, 16, v98
.LBB28_37:                              ;   in Loop: Header=BB28_7 Depth=2
	s_wait_alu 0xfffe
	s_or_b32 exec_lo, exec_lo, s27
	global_load_u16 v101, v[2:3], off offset:30
	v_dual_mov_b32 v102, 0 :: v_dual_mov_b32 v103, 0
	s_and_saveexec_b32 s27, s78
	s_cbranch_execz .LBB28_39
; %bb.38:                               ;   in Loop: Header=BB28_7 Depth=2
	v_add_co_u32 v103, s26, v71, v34
	s_wait_alu 0xf1ff
	v_add_co_ci_u32_e64 v104, null, v72, v35, s26
	global_load_u16 v103, v[103:104], off
	s_wait_loadcnt 0x0
	v_lshlrev_b32_e32 v103, 16, v103
.LBB28_39:                              ;   in Loop: Header=BB28_7 Depth=2
	s_wait_alu 0xfffe
	s_or_b32 exec_lo, exec_lo, s27
	global_load_u16 v104, v[2:3], off offset:32
	s_and_saveexec_b32 s27, s79
	s_cbranch_execz .LBB28_41
; %bb.40:                               ;   in Loop: Header=BB28_7 Depth=2
	v_add_co_u32 v105, s26, v71, v36
	s_wait_alu 0xf1ff
	v_add_co_ci_u32_e64 v106, null, v72, v37, s26
	global_load_u16 v102, v[105:106], off
	s_wait_loadcnt 0x0
	v_lshlrev_b32_e32 v102, 16, v102
.LBB28_41:                              ;   in Loop: Header=BB28_7 Depth=2
	s_wait_alu 0xfffe
	s_or_b32 exec_lo, exec_lo, s27
	global_load_u16 v105, v[2:3], off offset:34
	v_dual_mov_b32 v106, 0 :: v_dual_mov_b32 v107, 0
	s_and_saveexec_b32 s27, s36
	;; [unrolled: 27-line block ×3, first 2 shown]
	s_cbranch_execz .LBB28_47
; %bb.46:                               ;   in Loop: Header=BB28_7 Depth=2
	v_add_co_u32 v111, s26, v71, v42
	s_wait_alu 0xf1ff
	v_add_co_ci_u32_e64 v112, null, v72, v43, s26
	global_load_u16 v111, v[111:112], off
	s_wait_loadcnt 0x0
	v_lshlrev_b32_e32 v111, 16, v111
.LBB28_47:                              ;   in Loop: Header=BB28_7 Depth=2
	s_wait_alu 0xfffe
	s_or_b32 exec_lo, exec_lo, s27
	global_load_u16 v112, v[2:3], off offset:40
	s_and_saveexec_b32 s27, s82
	s_cbranch_execz .LBB28_49
; %bb.48:                               ;   in Loop: Header=BB28_7 Depth=2
	v_add_co_u32 v113, s26, v71, v44
	s_wait_alu 0xf1ff
	v_add_co_ci_u32_e64 v114, null, v72, v45, s26
	global_load_u16 v110, v[113:114], off
	s_wait_loadcnt 0x0
	v_lshlrev_b32_e32 v110, 16, v110
.LBB28_49:                              ;   in Loop: Header=BB28_7 Depth=2
	s_wait_alu 0xfffe
	s_or_b32 exec_lo, exec_lo, s27
	global_load_u16 v114, v[2:3], off offset:42
	v_mov_b32_e32 v113, 0
	v_mov_b32_e32 v115, 0
	s_and_saveexec_b32 s27, s29
	s_cbranch_execz .LBB28_51
; %bb.50:                               ;   in Loop: Header=BB28_7 Depth=2
	v_add_co_u32 v115, s26, v71, v46
	s_wait_alu 0xf1ff
	v_add_co_ci_u32_e64 v116, null, v72, v47, s26
	global_load_u16 v115, v[115:116], off
	s_wait_loadcnt 0x0
	v_lshlrev_b32_e32 v115, 16, v115
.LBB28_51:                              ;   in Loop: Header=BB28_7 Depth=2
	s_wait_alu 0xfffe
	s_or_b32 exec_lo, exec_lo, s27
	global_load_u16 v116, v[2:3], off offset:44
	s_and_saveexec_b32 s27, s31
	s_cbranch_execz .LBB28_53
; %bb.52:                               ;   in Loop: Header=BB28_7 Depth=2
	v_add_co_u32 v117, s26, v71, v48
	s_wait_alu 0xf1ff
	v_add_co_ci_u32_e64 v118, null, v72, v49, s26
	global_load_u16 v113, v[117:118], off
	s_wait_loadcnt 0x0
	v_lshlrev_b32_e32 v113, 16, v113
.LBB28_53:                              ;   in Loop: Header=BB28_7 Depth=2
	s_wait_alu 0xfffe
	s_or_b32 exec_lo, exec_lo, s27
	global_load_u16 v118, v[2:3], off offset:46
	v_mov_b32_e32 v117, 0
	v_mov_b32_e32 v119, 0
	s_and_saveexec_b32 s27, s38
	;; [unrolled: 28-line block ×3, first 2 shown]
	s_cbranch_execz .LBB28_59
; %bb.58:                               ;   in Loop: Header=BB28_7 Depth=2
	v_add_co_u32 v123, s26, v71, v54
	s_wait_alu 0xf1ff
	v_add_co_ci_u32_e64 v124, null, v72, v55, s26
	global_load_u16 v123, v[123:124], off
	s_wait_loadcnt 0x0
	v_lshlrev_b32_e32 v123, 16, v123
.LBB28_59:                              ;   in Loop: Header=BB28_7 Depth=2
	s_wait_alu 0xfffe
	s_or_b32 exec_lo, exec_lo, s27
	global_load_u16 v124, v[2:3], off offset:52
	s_and_saveexec_b32 s27, s28
	s_cbranch_execz .LBB28_6
; %bb.60:                               ;   in Loop: Header=BB28_7 Depth=2
	v_add_co_u32 v71, s26, v71, v56
	s_wait_alu 0xf1ff
	v_add_co_ci_u32_e64 v72, null, v72, v57, s26
	global_load_u16 v71, v[71:72], off
	s_wait_loadcnt 0x0
	v_lshlrev_b32_e32 v121, 16, v71
	s_branch .LBB28_6
.LBB28_61:                              ;   in Loop: Header=BB28_4 Depth=1
	v_mov_b32_e32 v69, 0
	s_branch .LBB28_3
.LBB28_62:
	s_nop 0
	s_sendmsg sendmsg(MSG_DEALLOC_VGPRS)
	s_endpgm
	.section	.rodata,"a",@progbits
	.p2align	6, 0x0
	.amdhsa_kernel _ZN2at6native12_GLOBAL__N_143conv_depthwise3d_cuda_backward_input_kernelIN3c108BFloat16EfLi3ELi3ELi3ELi1ELi1ELi1ELin1ELin1ELin1EEEvN5torch10headeronly6detail27GenericPackedTensorAccessorINS7_14TensorAccessorINS3_8ArrayRefIlEEKT_Lm4ENS6_16DefaultPtrTraitsEiEENS_6detail16IndexBoundsCheckILm5EiEESD_Lm5ESE_iEENS8_INS9_ISB_SC_Lm4ESE_iEESI_SC_Lm5ESE_iEESJ_iiiiiiiii
		.amdhsa_group_segment_fixed_size 0
		.amdhsa_private_segment_fixed_size 0
		.amdhsa_kernarg_size 440
		.amdhsa_user_sgpr_count 2
		.amdhsa_user_sgpr_dispatch_ptr 0
		.amdhsa_user_sgpr_queue_ptr 0
		.amdhsa_user_sgpr_kernarg_segment_ptr 1
		.amdhsa_user_sgpr_dispatch_id 0
		.amdhsa_user_sgpr_private_segment_size 0
		.amdhsa_wavefront_size32 1
		.amdhsa_uses_dynamic_stack 0
		.amdhsa_enable_private_segment 0
		.amdhsa_system_sgpr_workgroup_id_x 1
		.amdhsa_system_sgpr_workgroup_id_y 0
		.amdhsa_system_sgpr_workgroup_id_z 0
		.amdhsa_system_sgpr_workgroup_info 0
		.amdhsa_system_vgpr_workitem_id 0
		.amdhsa_next_free_vgpr 126
		.amdhsa_next_free_sgpr 105
		.amdhsa_reserve_vcc 1
		.amdhsa_float_round_mode_32 0
		.amdhsa_float_round_mode_16_64 0
		.amdhsa_float_denorm_mode_32 3
		.amdhsa_float_denorm_mode_16_64 3
		.amdhsa_fp16_overflow 0
		.amdhsa_workgroup_processor_mode 1
		.amdhsa_memory_ordered 1
		.amdhsa_forward_progress 1
		.amdhsa_inst_pref_size 56
		.amdhsa_round_robin_scheduling 0
		.amdhsa_exception_fp_ieee_invalid_op 0
		.amdhsa_exception_fp_denorm_src 0
		.amdhsa_exception_fp_ieee_div_zero 0
		.amdhsa_exception_fp_ieee_overflow 0
		.amdhsa_exception_fp_ieee_underflow 0
		.amdhsa_exception_fp_ieee_inexact 0
		.amdhsa_exception_int_div_zero 0
	.end_amdhsa_kernel
	.section	.text._ZN2at6native12_GLOBAL__N_143conv_depthwise3d_cuda_backward_input_kernelIN3c108BFloat16EfLi3ELi3ELi3ELi1ELi1ELi1ELin1ELin1ELin1EEEvN5torch10headeronly6detail27GenericPackedTensorAccessorINS7_14TensorAccessorINS3_8ArrayRefIlEEKT_Lm4ENS6_16DefaultPtrTraitsEiEENS_6detail16IndexBoundsCheckILm5EiEESD_Lm5ESE_iEENS8_INS9_ISB_SC_Lm4ESE_iEESI_SC_Lm5ESE_iEESJ_iiiiiiiii,"axG",@progbits,_ZN2at6native12_GLOBAL__N_143conv_depthwise3d_cuda_backward_input_kernelIN3c108BFloat16EfLi3ELi3ELi3ELi1ELi1ELi1ELin1ELin1ELin1EEEvN5torch10headeronly6detail27GenericPackedTensorAccessorINS7_14TensorAccessorINS3_8ArrayRefIlEEKT_Lm4ENS6_16DefaultPtrTraitsEiEENS_6detail16IndexBoundsCheckILm5EiEESD_Lm5ESE_iEENS8_INS9_ISB_SC_Lm4ESE_iEESI_SC_Lm5ESE_iEESJ_iiiiiiiii,comdat
.Lfunc_end28:
	.size	_ZN2at6native12_GLOBAL__N_143conv_depthwise3d_cuda_backward_input_kernelIN3c108BFloat16EfLi3ELi3ELi3ELi1ELi1ELi1ELin1ELin1ELin1EEEvN5torch10headeronly6detail27GenericPackedTensorAccessorINS7_14TensorAccessorINS3_8ArrayRefIlEEKT_Lm4ENS6_16DefaultPtrTraitsEiEENS_6detail16IndexBoundsCheckILm5EiEESD_Lm5ESE_iEENS8_INS9_ISB_SC_Lm4ESE_iEESI_SC_Lm5ESE_iEESJ_iiiiiiiii, .Lfunc_end28-_ZN2at6native12_GLOBAL__N_143conv_depthwise3d_cuda_backward_input_kernelIN3c108BFloat16EfLi3ELi3ELi3ELi1ELi1ELi1ELin1ELin1ELin1EEEvN5torch10headeronly6detail27GenericPackedTensorAccessorINS7_14TensorAccessorINS3_8ArrayRefIlEEKT_Lm4ENS6_16DefaultPtrTraitsEiEENS_6detail16IndexBoundsCheckILm5EiEESD_Lm5ESE_iEENS8_INS9_ISB_SC_Lm4ESE_iEESI_SC_Lm5ESE_iEESJ_iiiiiiiii
                                        ; -- End function
	.set _ZN2at6native12_GLOBAL__N_143conv_depthwise3d_cuda_backward_input_kernelIN3c108BFloat16EfLi3ELi3ELi3ELi1ELi1ELi1ELin1ELin1ELin1EEEvN5torch10headeronly6detail27GenericPackedTensorAccessorINS7_14TensorAccessorINS3_8ArrayRefIlEEKT_Lm4ENS6_16DefaultPtrTraitsEiEENS_6detail16IndexBoundsCheckILm5EiEESD_Lm5ESE_iEENS8_INS9_ISB_SC_Lm4ESE_iEESI_SC_Lm5ESE_iEESJ_iiiiiiiii.num_vgpr, 126
	.set _ZN2at6native12_GLOBAL__N_143conv_depthwise3d_cuda_backward_input_kernelIN3c108BFloat16EfLi3ELi3ELi3ELi1ELi1ELi1ELin1ELin1ELin1EEEvN5torch10headeronly6detail27GenericPackedTensorAccessorINS7_14TensorAccessorINS3_8ArrayRefIlEEKT_Lm4ENS6_16DefaultPtrTraitsEiEENS_6detail16IndexBoundsCheckILm5EiEESD_Lm5ESE_iEENS8_INS9_ISB_SC_Lm4ESE_iEESI_SC_Lm5ESE_iEESJ_iiiiiiiii.num_agpr, 0
	.set _ZN2at6native12_GLOBAL__N_143conv_depthwise3d_cuda_backward_input_kernelIN3c108BFloat16EfLi3ELi3ELi3ELi1ELi1ELi1ELin1ELin1ELin1EEEvN5torch10headeronly6detail27GenericPackedTensorAccessorINS7_14TensorAccessorINS3_8ArrayRefIlEEKT_Lm4ENS6_16DefaultPtrTraitsEiEENS_6detail16IndexBoundsCheckILm5EiEESD_Lm5ESE_iEENS8_INS9_ISB_SC_Lm4ESE_iEESI_SC_Lm5ESE_iEESJ_iiiiiiiii.numbered_sgpr, 105
	.set _ZN2at6native12_GLOBAL__N_143conv_depthwise3d_cuda_backward_input_kernelIN3c108BFloat16EfLi3ELi3ELi3ELi1ELi1ELi1ELin1ELin1ELin1EEEvN5torch10headeronly6detail27GenericPackedTensorAccessorINS7_14TensorAccessorINS3_8ArrayRefIlEEKT_Lm4ENS6_16DefaultPtrTraitsEiEENS_6detail16IndexBoundsCheckILm5EiEESD_Lm5ESE_iEENS8_INS9_ISB_SC_Lm4ESE_iEESI_SC_Lm5ESE_iEESJ_iiiiiiiii.num_named_barrier, 0
	.set _ZN2at6native12_GLOBAL__N_143conv_depthwise3d_cuda_backward_input_kernelIN3c108BFloat16EfLi3ELi3ELi3ELi1ELi1ELi1ELin1ELin1ELin1EEEvN5torch10headeronly6detail27GenericPackedTensorAccessorINS7_14TensorAccessorINS3_8ArrayRefIlEEKT_Lm4ENS6_16DefaultPtrTraitsEiEENS_6detail16IndexBoundsCheckILm5EiEESD_Lm5ESE_iEENS8_INS9_ISB_SC_Lm4ESE_iEESI_SC_Lm5ESE_iEESJ_iiiiiiiii.private_seg_size, 0
	.set _ZN2at6native12_GLOBAL__N_143conv_depthwise3d_cuda_backward_input_kernelIN3c108BFloat16EfLi3ELi3ELi3ELi1ELi1ELi1ELin1ELin1ELin1EEEvN5torch10headeronly6detail27GenericPackedTensorAccessorINS7_14TensorAccessorINS3_8ArrayRefIlEEKT_Lm4ENS6_16DefaultPtrTraitsEiEENS_6detail16IndexBoundsCheckILm5EiEESD_Lm5ESE_iEENS8_INS9_ISB_SC_Lm4ESE_iEESI_SC_Lm5ESE_iEESJ_iiiiiiiii.uses_vcc, 1
	.set _ZN2at6native12_GLOBAL__N_143conv_depthwise3d_cuda_backward_input_kernelIN3c108BFloat16EfLi3ELi3ELi3ELi1ELi1ELi1ELin1ELin1ELin1EEEvN5torch10headeronly6detail27GenericPackedTensorAccessorINS7_14TensorAccessorINS3_8ArrayRefIlEEKT_Lm4ENS6_16DefaultPtrTraitsEiEENS_6detail16IndexBoundsCheckILm5EiEESD_Lm5ESE_iEENS8_INS9_ISB_SC_Lm4ESE_iEESI_SC_Lm5ESE_iEESJ_iiiiiiiii.uses_flat_scratch, 0
	.set _ZN2at6native12_GLOBAL__N_143conv_depthwise3d_cuda_backward_input_kernelIN3c108BFloat16EfLi3ELi3ELi3ELi1ELi1ELi1ELin1ELin1ELin1EEEvN5torch10headeronly6detail27GenericPackedTensorAccessorINS7_14TensorAccessorINS3_8ArrayRefIlEEKT_Lm4ENS6_16DefaultPtrTraitsEiEENS_6detail16IndexBoundsCheckILm5EiEESD_Lm5ESE_iEENS8_INS9_ISB_SC_Lm4ESE_iEESI_SC_Lm5ESE_iEESJ_iiiiiiiii.has_dyn_sized_stack, 0
	.set _ZN2at6native12_GLOBAL__N_143conv_depthwise3d_cuda_backward_input_kernelIN3c108BFloat16EfLi3ELi3ELi3ELi1ELi1ELi1ELin1ELin1ELin1EEEvN5torch10headeronly6detail27GenericPackedTensorAccessorINS7_14TensorAccessorINS3_8ArrayRefIlEEKT_Lm4ENS6_16DefaultPtrTraitsEiEENS_6detail16IndexBoundsCheckILm5EiEESD_Lm5ESE_iEENS8_INS9_ISB_SC_Lm4ESE_iEESI_SC_Lm5ESE_iEESJ_iiiiiiiii.has_recursion, 0
	.set _ZN2at6native12_GLOBAL__N_143conv_depthwise3d_cuda_backward_input_kernelIN3c108BFloat16EfLi3ELi3ELi3ELi1ELi1ELi1ELin1ELin1ELin1EEEvN5torch10headeronly6detail27GenericPackedTensorAccessorINS7_14TensorAccessorINS3_8ArrayRefIlEEKT_Lm4ENS6_16DefaultPtrTraitsEiEENS_6detail16IndexBoundsCheckILm5EiEESD_Lm5ESE_iEENS8_INS9_ISB_SC_Lm4ESE_iEESI_SC_Lm5ESE_iEESJ_iiiiiiiii.has_indirect_call, 0
	.section	.AMDGPU.csdata,"",@progbits
; Kernel info:
; codeLenInByte = 7156
; TotalNumSgprs: 107
; NumVgprs: 126
; ScratchSize: 0
; MemoryBound: 0
; FloatMode: 240
; IeeeMode: 1
; LDSByteSize: 0 bytes/workgroup (compile time only)
; SGPRBlocks: 0
; VGPRBlocks: 15
; NumSGPRsForWavesPerEU: 107
; NumVGPRsForWavesPerEU: 126
; Occupancy: 10
; WaveLimiterHint : 0
; COMPUTE_PGM_RSRC2:SCRATCH_EN: 0
; COMPUTE_PGM_RSRC2:USER_SGPR: 2
; COMPUTE_PGM_RSRC2:TRAP_HANDLER: 0
; COMPUTE_PGM_RSRC2:TGID_X_EN: 1
; COMPUTE_PGM_RSRC2:TGID_Y_EN: 0
; COMPUTE_PGM_RSRC2:TGID_Z_EN: 0
; COMPUTE_PGM_RSRC2:TIDIG_COMP_CNT: 0
	.section	.text._ZN2at6native12_GLOBAL__N_143conv_depthwise3d_cuda_backward_input_kernelIN3c108BFloat16EfLi3ELi3ELi3ELin1ELin1ELin1ELi1ELi1ELi1EEEvN5torch10headeronly6detail27GenericPackedTensorAccessorINS7_14TensorAccessorINS3_8ArrayRefIlEEKT_Lm4ENS6_16DefaultPtrTraitsEiEENS_6detail16IndexBoundsCheckILm5EiEESD_Lm5ESE_iEENS8_INS9_ISB_SC_Lm4ESE_iEESI_SC_Lm5ESE_iEESJ_iiiiiiiii,"axG",@progbits,_ZN2at6native12_GLOBAL__N_143conv_depthwise3d_cuda_backward_input_kernelIN3c108BFloat16EfLi3ELi3ELi3ELin1ELin1ELin1ELi1ELi1ELi1EEEvN5torch10headeronly6detail27GenericPackedTensorAccessorINS7_14TensorAccessorINS3_8ArrayRefIlEEKT_Lm4ENS6_16DefaultPtrTraitsEiEENS_6detail16IndexBoundsCheckILm5EiEESD_Lm5ESE_iEENS8_INS9_ISB_SC_Lm4ESE_iEESI_SC_Lm5ESE_iEESJ_iiiiiiiii,comdat
	.globl	_ZN2at6native12_GLOBAL__N_143conv_depthwise3d_cuda_backward_input_kernelIN3c108BFloat16EfLi3ELi3ELi3ELin1ELin1ELin1ELi1ELi1ELi1EEEvN5torch10headeronly6detail27GenericPackedTensorAccessorINS7_14TensorAccessorINS3_8ArrayRefIlEEKT_Lm4ENS6_16DefaultPtrTraitsEiEENS_6detail16IndexBoundsCheckILm5EiEESD_Lm5ESE_iEENS8_INS9_ISB_SC_Lm4ESE_iEESI_SC_Lm5ESE_iEESJ_iiiiiiiii ; -- Begin function _ZN2at6native12_GLOBAL__N_143conv_depthwise3d_cuda_backward_input_kernelIN3c108BFloat16EfLi3ELi3ELi3ELin1ELin1ELin1ELi1ELi1ELi1EEEvN5torch10headeronly6detail27GenericPackedTensorAccessorINS7_14TensorAccessorINS3_8ArrayRefIlEEKT_Lm4ENS6_16DefaultPtrTraitsEiEENS_6detail16IndexBoundsCheckILm5EiEESD_Lm5ESE_iEENS8_INS9_ISB_SC_Lm4ESE_iEESI_SC_Lm5ESE_iEESJ_iiiiiiiii
	.p2align	8
	.type	_ZN2at6native12_GLOBAL__N_143conv_depthwise3d_cuda_backward_input_kernelIN3c108BFloat16EfLi3ELi3ELi3ELin1ELin1ELin1ELi1ELi1ELi1EEEvN5torch10headeronly6detail27GenericPackedTensorAccessorINS7_14TensorAccessorINS3_8ArrayRefIlEEKT_Lm4ENS6_16DefaultPtrTraitsEiEENS_6detail16IndexBoundsCheckILm5EiEESD_Lm5ESE_iEENS8_INS9_ISB_SC_Lm4ESE_iEESI_SC_Lm5ESE_iEESJ_iiiiiiiii,@function
_ZN2at6native12_GLOBAL__N_143conv_depthwise3d_cuda_backward_input_kernelIN3c108BFloat16EfLi3ELi3ELi3ELin1ELin1ELin1ELi1ELi1ELi1EEEvN5torch10headeronly6detail27GenericPackedTensorAccessorINS7_14TensorAccessorINS3_8ArrayRefIlEEKT_Lm4ENS6_16DefaultPtrTraitsEiEENS_6detail16IndexBoundsCheckILm5EiEESD_Lm5ESE_iEENS8_INS9_ISB_SC_Lm4ESE_iEESI_SC_Lm5ESE_iEESJ_iiiiiiiii: ; @_ZN2at6native12_GLOBAL__N_143conv_depthwise3d_cuda_backward_input_kernelIN3c108BFloat16EfLi3ELi3ELi3ELin1ELin1ELin1ELi1ELi1ELi1EEEvN5torch10headeronly6detail27GenericPackedTensorAccessorINS7_14TensorAccessorINS3_8ArrayRefIlEEKT_Lm4ENS6_16DefaultPtrTraitsEiEENS_6detail16IndexBoundsCheckILm5EiEESD_Lm5ESE_iEENS8_INS9_ISB_SC_Lm4ESE_iEESI_SC_Lm5ESE_iEESJ_iiiiiiiii
; %bb.0:
	s_clause 0x2
	s_load_b128 s[4:7], s[0:1], 0x38
	s_load_b32 s2, s[0:1], 0xc4
	s_load_b64 s[20:21], s[0:1], 0x48
	v_mov_b32_e32 v1, 0
	s_wait_kmcnt 0x0
	s_abs_i32 s33, s5
	s_and_b32 s2, s2, 0xffff
	s_cvt_f32_u32 s3, s33
	v_mad_co_u64_u32 v[0:1], null, s2, ttmp9, v[0:1]
	s_mul_i32 s22, s21, s4
	s_delay_alu instid0(SALU_CYCLE_1) | instskip(SKIP_2) | instid1(TRANS32_DEP_1)
	v_rcp_iflag_f32_e32 v2, s3
	s_ashr_i32 s23, s22, 31
	s_mov_b32 s4, exec_lo
	v_readfirstlane_b32 s3, v2
	v_cmpx_gt_i64_e64 s[22:23], v[0:1]
	s_cbranch_execz .LBB29_62
; %bb.1:
	s_clause 0x1
	s_load_b128 s[8:11], s[0:1], 0xc
	s_load_b64 s[26:27], s[0:1], 0x0
	s_mul_f32 s3, s3, 0x4f7ffffe
	s_sub_co_i32 s4, 0, s33
	s_mov_b32 s25, 0
	s_ashr_i32 s38, s5, 31
	s_wait_alu 0xfffe
	s_cvt_u32_f32 s3, s3
	s_mov_b32 s13, s25
	s_add_nc_u64 s[16:17], s[0:1], 0xb8
	s_load_b64 s[28:29], s[0:1], 0xac
	s_mul_i32 s12, s4, s3
	s_delay_alu instid0(SALU_CYCLE_1) | instskip(NEXT) | instid1(SALU_CYCLE_1)
	s_mul_hi_u32 s12, s3, s12
	s_add_co_i32 s12, s3, s12
	v_readfirstlane_b32 s3, v2
	s_mul_f32 s3, s3, 0x4f7ffffe
	s_wait_kmcnt 0x0
	s_abs_i32 s24, s8
	s_ashr_i32 s8, s8, 31
	s_mul_u64 s[18:19], s[24:25], s[12:13]
	s_xor_b32 s8, s8, s38
	s_mul_i32 s18, s19, s33
	s_clause 0x1
	s_load_b128 s[12:15], s[0:1], 0x9c
	s_load_b32 s39, s[0:1], 0x7c
	s_sub_co_i32 s18, s24, s18
	s_add_co_i32 s24, s19, 1
	s_sub_co_i32 s30, s18, s33
	s_cmp_ge_u32 s18, s33
	s_load_b32 s43, s[16:17], 0x0
	s_cselect_b32 s16, s24, s19
	s_cselect_b32 s17, s30, s18
	s_add_co_i32 s18, s16, 1
	s_cmp_ge_u32 s17, s33
	s_clause 0x1
	s_load_b64 s[30:31], s[0:1], 0x1c
	s_load_b64 s[34:35], s[0:1], 0x30
	s_cselect_b32 s16, s18, s16
	s_cvt_u32_f32 s3, s3
	s_xor_b32 s16, s16, s8
	s_delay_alu instid0(SALU_CYCLE_1)
	s_sub_co_i32 s8, s16, s8
	s_clause 0x1
	s_load_b64 s[36:37], s[0:1], 0x60
	s_load_b128 s[16:19], s[0:1], 0x50
	s_cmp_gt_i32 s8, 0
	s_mul_i32 s4, s4, s3
	s_cselect_b32 s24, -1, 0
	s_abs_i32 s40, s20
	s_abs_i32 s41, s7
	;; [unrolled: 1-line block ×3, first 2 shown]
	s_cvt_f32_u32 s0, s40
	s_cvt_f32_u32 s1, s41
	;; [unrolled: 1-line block ×3, first 2 shown]
	s_wait_kmcnt 0x0
	s_mul_i32 s43, s43, s2
	s_wait_alu 0xfffe
	v_rcp_iflag_f32_e32 v2, s0
	v_rcp_iflag_f32_e32 v3, s1
	;; [unrolled: 1-line block ×3, first 2 shown]
	s_sub_co_i32 s50, 0, s40
	s_sub_co_i32 s51, 0, s41
	;; [unrolled: 1-line block ×3, first 2 shown]
	s_mul_hi_u32 s4, s3, s4
	s_lshl_b32 s44, s29, 1
	s_lshl_b32 s45, s28, 1
	;; [unrolled: 1-line block ×3, first 2 shown]
	v_readfirstlane_b32 s0, v2
	v_readfirstlane_b32 s1, v3
	;; [unrolled: 1-line block ×3, first 2 shown]
	s_ashr_i32 s47, s20, 31
	s_ashr_i32 s48, s7, 31
	s_mul_f32 s0, s0, 0x4f7ffffe
	s_mul_f32 s1, s1, 0x4f7ffffe
	;; [unrolled: 1-line block ×3, first 2 shown]
	s_ashr_i32 s49, s6, 31
	s_wait_alu 0xfffe
	s_cvt_u32_f32 s0, s0
	s_cvt_u32_f32 s1, s1
	s_cvt_u32_f32 s2, s2
	s_add_co_i32 s53, s3, s4
	s_wait_alu 0xfffe
	s_mul_i32 s50, s50, s0
	s_mul_i32 s51, s51, s1
	;; [unrolled: 1-line block ×3, first 2 shown]
	s_mul_hi_u32 s50, s0, s50
	s_mul_hi_u32 s51, s1, s51
	;; [unrolled: 1-line block ×3, first 2 shown]
	s_add_co_i32 s50, s0, s50
	s_add_co_i32 s51, s1, s51
	;; [unrolled: 1-line block ×3, first 2 shown]
	s_mul_i32 s54, s31, s8
	s_branch .LBB29_4
.LBB29_2:                               ;   in Loop: Header=BB29_4 Depth=1
	s_or_b32 exec_lo, exec_lo, s77
.LBB29_3:                               ;   in Loop: Header=BB29_4 Depth=1
	v_mul_lo_u32 v2, v63, s21
	v_mul_lo_u32 v4, s16, v64
	s_delay_alu instid0(VALU_DEP_3) | instskip(SKIP_3) | instid1(VALU_DEP_4)
	v_bfe_u32 v5, v69, 16, 1
	v_mul_lo_u32 v6, s17, v62
	v_mul_lo_u32 v8, s18, v61
	;; [unrolled: 1-line block ×3, first 2 shown]
	v_add3_u32 v12, v69, v5, 0x7fff
	v_ashrrev_i32_e32 v3, 31, v2
	v_ashrrev_i32_e32 v5, 31, v4
	v_ashrrev_i32_e32 v7, 31, v6
	s_delay_alu instid0(VALU_DEP_4) | instskip(NEXT) | instid1(VALU_DEP_4)
	v_lshrrev_b32_e32 v12, 16, v12
	v_lshlrev_b64_e32 v[2:3], 1, v[2:3]
	s_delay_alu instid0(VALU_DEP_4) | instskip(SKIP_2) | instid1(VALU_DEP_4)
	v_lshlrev_b64_e32 v[4:5], 1, v[4:5]
	v_ashrrev_i32_e32 v9, 31, v8
	v_ashrrev_i32_e32 v11, 31, v10
	v_add_co_u32 v13, vcc_lo, s34, v2
	s_wait_alu 0xfffd
	v_add_co_ci_u32_e64 v14, null, s35, v3, vcc_lo
	v_lshlrev_b64_e32 v[2:3], 1, v[6:7]
	s_delay_alu instid0(VALU_DEP_3) | instskip(SKIP_1) | instid1(VALU_DEP_3)
	v_add_co_u32 v4, vcc_lo, v13, v4
	s_wait_alu 0xfffd
	v_add_co_ci_u32_e64 v5, null, v14, v5, vcc_lo
	v_cmp_o_f32_e32 vcc_lo, v69, v69
	s_wait_alu 0xfffd
	v_cndmask_b32_e32 v6, 0x7fc0, v12, vcc_lo
	v_add_co_u32 v7, vcc_lo, v4, v2
	s_wait_alu 0xfffd
	v_add_co_ci_u32_e64 v12, null, v5, v3, vcc_lo
	v_lshlrev_b64_e32 v[2:3], 1, v[8:9]
	v_add_co_u32 v0, vcc_lo, v0, s43
	v_lshlrev_b64_e32 v[4:5], 1, v[10:11]
	s_wait_alu 0xfffd
	v_add_co_ci_u32_e64 v1, null, 0, v1, vcc_lo
	s_delay_alu instid0(VALU_DEP_4) | instskip(SKIP_2) | instid1(VALU_DEP_3)
	v_add_co_u32 v2, vcc_lo, v7, v2
	s_wait_alu 0xfffd
	v_add_co_ci_u32_e64 v3, null, v12, v3, vcc_lo
	v_cmp_le_i64_e32 vcc_lo, s[22:23], v[0:1]
	s_delay_alu instid0(VALU_DEP_3) | instskip(SKIP_1) | instid1(VALU_DEP_3)
	v_add_co_u32 v2, s0, v2, v4
	s_wait_alu 0xf1ff
	v_add_co_ci_u32_e64 v3, null, v3, v5, s0
	s_or_b32 s25, vcc_lo, s25
	global_store_b16 v[2:3], v6, off
	s_and_not1_b32 exec_lo, exec_lo, s25
	s_cbranch_execz .LBB29_62
.LBB29_4:                               ; =>This Loop Header: Depth=1
                                        ;     Child Loop BB29_7 Depth 2
	v_sub_nc_u32_e32 v2, 0, v0
	s_delay_alu instid0(VALU_DEP_1) | instskip(NEXT) | instid1(VALU_DEP_1)
	v_max_i32_e32 v2, v0, v2
	v_mul_hi_u32 v3, v2, s50
	s_delay_alu instid0(VALU_DEP_1) | instskip(NEXT) | instid1(VALU_DEP_1)
	v_mul_lo_u32 v4, v3, s40
	v_sub_nc_u32_e32 v2, v2, v4
	v_add_nc_u32_e32 v4, 1, v3
	s_delay_alu instid0(VALU_DEP_2) | instskip(SKIP_2) | instid1(VALU_DEP_2)
	v_subrev_nc_u32_e32 v5, s40, v2
	v_cmp_le_u32_e32 vcc_lo, s40, v2
	s_wait_alu 0xfffd
	v_dual_cndmask_b32 v3, v3, v4 :: v_dual_cndmask_b32 v2, v2, v5
	v_ashrrev_i32_e32 v4, 31, v0
	s_delay_alu instid0(VALU_DEP_2) | instskip(NEXT) | instid1(VALU_DEP_3)
	v_add_nc_u32_e32 v5, 1, v3
	v_cmp_le_u32_e32 vcc_lo, s40, v2
	s_delay_alu instid0(VALU_DEP_3) | instskip(SKIP_1) | instid1(VALU_DEP_3)
	v_xor_b32_e32 v4, s47, v4
	s_wait_alu 0xfffd
	v_cndmask_b32_e32 v2, v3, v5, vcc_lo
	s_delay_alu instid0(VALU_DEP_1) | instskip(NEXT) | instid1(VALU_DEP_1)
	v_xor_b32_e32 v2, v2, v4
	v_sub_nc_u32_e32 v2, v2, v4
	s_delay_alu instid0(VALU_DEP_1) | instskip(NEXT) | instid1(VALU_DEP_1)
	v_sub_nc_u32_e32 v3, 0, v2
	v_max_i32_e32 v3, v2, v3
	s_delay_alu instid0(VALU_DEP_1) | instskip(NEXT) | instid1(VALU_DEP_1)
	v_mul_hi_u32 v4, v3, s51
	v_mul_lo_u32 v5, v4, s41
	s_delay_alu instid0(VALU_DEP_1) | instskip(SKIP_1) | instid1(VALU_DEP_2)
	v_sub_nc_u32_e32 v3, v3, v5
	v_add_nc_u32_e32 v5, 1, v4
	v_subrev_nc_u32_e32 v6, s41, v3
	v_cmp_le_u32_e32 vcc_lo, s41, v3
	s_wait_alu 0xfffd
	s_delay_alu instid0(VALU_DEP_2) | instskip(SKIP_1) | instid1(VALU_DEP_2)
	v_dual_cndmask_b32 v4, v4, v5 :: v_dual_cndmask_b32 v3, v3, v6
	v_ashrrev_i32_e32 v5, 31, v2
	v_add_nc_u32_e32 v6, 1, v4
	s_delay_alu instid0(VALU_DEP_3) | instskip(NEXT) | instid1(VALU_DEP_3)
	v_cmp_le_u32_e32 vcc_lo, s41, v3
	v_xor_b32_e32 v5, s48, v5
	s_wait_alu 0xfffd
	s_delay_alu instid0(VALU_DEP_3) | instskip(NEXT) | instid1(VALU_DEP_1)
	v_cndmask_b32_e32 v3, v4, v6, vcc_lo
	v_xor_b32_e32 v3, v3, v5
	s_delay_alu instid0(VALU_DEP_1) | instskip(NEXT) | instid1(VALU_DEP_1)
	v_sub_nc_u32_e32 v3, v3, v5
	v_sub_nc_u32_e32 v4, 0, v3
	s_delay_alu instid0(VALU_DEP_1) | instskip(NEXT) | instid1(VALU_DEP_1)
	v_max_i32_e32 v4, v3, v4
	v_mul_hi_u32 v5, v4, s52
	s_delay_alu instid0(VALU_DEP_1) | instskip(NEXT) | instid1(VALU_DEP_1)
	v_mul_lo_u32 v6, v5, s42
	v_sub_nc_u32_e32 v4, v4, v6
	v_add_nc_u32_e32 v6, 1, v5
	s_delay_alu instid0(VALU_DEP_2) | instskip(SKIP_2) | instid1(VALU_DEP_2)
	v_subrev_nc_u32_e32 v7, s42, v4
	v_cmp_le_u32_e32 vcc_lo, s42, v4
	s_wait_alu 0xfffd
	v_dual_cndmask_b32 v5, v5, v6 :: v_dual_cndmask_b32 v4, v4, v7
	v_ashrrev_i32_e32 v6, 31, v3
	s_delay_alu instid0(VALU_DEP_2) | instskip(NEXT) | instid1(VALU_DEP_3)
	v_add_nc_u32_e32 v7, 1, v5
	v_cmp_le_u32_e32 vcc_lo, s42, v4
	s_delay_alu instid0(VALU_DEP_3) | instskip(SKIP_1) | instid1(VALU_DEP_3)
	v_xor_b32_e32 v6, s49, v6
	s_wait_alu 0xfffd
	v_cndmask_b32_e32 v4, v5, v7, vcc_lo
	s_delay_alu instid0(VALU_DEP_1) | instskip(NEXT) | instid1(VALU_DEP_1)
	v_xor_b32_e32 v4, v4, v6
	v_sub_nc_u32_e32 v4, v4, v6
	s_delay_alu instid0(VALU_DEP_1) | instskip(NEXT) | instid1(VALU_DEP_1)
	v_sub_nc_u32_e32 v5, 0, v4
	v_max_i32_e32 v5, v4, v5
	s_delay_alu instid0(VALU_DEP_1) | instskip(NEXT) | instid1(VALU_DEP_1)
	v_mul_hi_u32 v6, v5, s53
	v_mul_lo_u32 v7, v6, s33
	s_delay_alu instid0(VALU_DEP_1) | instskip(SKIP_1) | instid1(VALU_DEP_2)
	v_sub_nc_u32_e32 v5, v5, v7
	v_add_nc_u32_e32 v7, 1, v6
	v_subrev_nc_u32_e32 v8, s33, v5
	v_cmp_le_u32_e32 vcc_lo, s33, v5
	s_wait_alu 0xfffd
	s_delay_alu instid0(VALU_DEP_2) | instskip(SKIP_1) | instid1(VALU_DEP_2)
	v_dual_cndmask_b32 v6, v6, v7 :: v_dual_cndmask_b32 v5, v5, v8
	v_ashrrev_i32_e32 v7, 31, v4
	v_add_nc_u32_e32 v8, 1, v6
	s_delay_alu instid0(VALU_DEP_3) | instskip(NEXT) | instid1(VALU_DEP_3)
	v_cmp_le_u32_e32 vcc_lo, s33, v5
	v_xor_b32_e32 v7, s38, v7
	s_wait_alu 0xfffd
	s_delay_alu instid0(VALU_DEP_3) | instskip(SKIP_2) | instid1(VALU_DEP_2)
	v_cndmask_b32_e32 v5, v6, v8, vcc_lo
	v_mul_lo_u32 v6, v3, s7
	s_and_not1_b32 vcc_lo, exec_lo, s24
	v_xor_b32_e32 v5, v5, v7
	s_delay_alu instid0(VALU_DEP_2) | instskip(NEXT) | instid1(VALU_DEP_2)
	v_sub_nc_u32_e32 v61, v2, v6
	v_sub_nc_u32_e32 v63, v5, v7
	v_mul_lo_u32 v5, v2, s20
	v_mul_lo_u32 v7, v4, s6
	s_delay_alu instid0(VALU_DEP_3) | instskip(NEXT) | instid1(VALU_DEP_3)
	v_mul_lo_u32 v8, v63, s5
	v_sub_nc_u32_e32 v60, v0, v5
	s_delay_alu instid0(VALU_DEP_3) | instskip(NEXT) | instid1(VALU_DEP_3)
	v_sub_nc_u32_e32 v62, v3, v7
	v_sub_nc_u32_e32 v64, v4, v8
	s_wait_alu 0xfffe
	s_cbranch_vccnz .LBB29_61
; %bb.5:                                ;   in Loop: Header=BB29_4 Depth=1
	s_delay_alu instid0(VALU_DEP_1) | instskip(SKIP_4) | instid1(VALU_DEP_3)
	v_mul_lo_u32 v65, v64, s8
	v_mul_lo_u32 v2, s30, v63
	v_add_nc_u32_e32 v7, s12, v62
	v_add_nc_u32_e32 v37, s13, v61
	v_dual_mov_b32 v69, 0 :: v_dual_add_nc_u32 v4, s14, v60
	v_mul_lo_u32 v16, v7, s10
	v_mul_lo_u32 v5, s39, v65
	v_ashrrev_i32_e32 v3, 31, v2
	s_delay_alu instid0(VALU_DEP_4)
	v_or_b32_e32 v8, v4, v37
	v_subrev_nc_u32_e32 v55, s29, v4
	v_cmp_gt_i32_e64 s0, s10, v37
	v_subrev_nc_u32_e32 v41, s46, v7
	v_lshlrev_b64_e32 v[2:3], 1, v[2:3]
	v_add_nc_u32_e32 v9, v37, v16
	v_ashrrev_i32_e32 v6, 31, v5
	v_subrev_nc_u32_e32 v23, s15, v7
	v_cmp_gt_i32_e32 vcc_lo, s9, v7
	v_subrev_nc_u32_e32 v57, s44, v4
	v_add_co_u32 v67, s1, s26, v2
	v_lshlrev_b64_e32 v[5:6], 1, v[5:6]
	s_wait_alu 0xf1ff
	v_add_co_ci_u32_e64 v68, null, s27, v3, s1
	v_mul_lo_u32 v10, v9, s11
	v_or_b32_e32 v9, v55, v37
	v_or_b32_e32 v42, v8, v41
	v_add_co_u32 v2, s1, s36, v5
	v_or_b32_e32 v5, v8, v7
	s_wait_alu 0xf1ff
	v_add_co_ci_u32_e64 v3, null, s37, v6, s1
	v_cmp_gt_i32_e64 s1, s11, v4
	v_or_b32_e32 v24, v8, v23
	v_cmp_lt_i32_e64 s2, -1, v5
	v_or_b32_e32 v8, v9, v7
	v_or_b32_e32 v11, v57, v37
	s_and_b32 s70, s1, s0
	v_subrev_nc_u32_e32 v44, s28, v37
	s_and_b32 s2, s70, s2
	v_cmp_lt_i32_e64 s3, -1, v8
	s_wait_alu 0xfffe
	s_and_b32 s55, s2, vcc_lo
	v_cmp_gt_i32_e64 s2, s11, v55
	v_or_b32_e32 v12, v11, v7
	v_or_b32_e32 v13, v4, v44
	v_or_b32_e32 v15, v55, v44
	v_or_b32_e32 v17, v57, v44
	s_and_b32 s71, s2, s0
	v_cmp_lt_i32_e64 s4, -1, v12
	s_and_b32 s3, s71, s3
	v_or_b32_e32 v14, v13, v7
	s_wait_alu 0xfffe
	s_and_b32 s56, s3, vcc_lo
	v_cmp_gt_i32_e64 s3, s11, v57
	v_add_nc_u32_e32 v12, v44, v16
	v_subrev_nc_u32_e32 v49, s45, v37
	v_or_b32_e32 v20, v17, v7
	v_or_b32_e32 v50, v17, v41
	s_and_b32 s72, s3, s0
	v_cmp_gt_i32_e64 s0, s10, v44
	s_and_b32 s4, s72, s4
	v_mul_lo_u32 v18, v12, s11
	s_wait_alu 0xfffe
	s_and_b32 s57, s4, vcc_lo
	v_cmp_lt_i32_e64 s4, -1, v14
	v_or_b32_e32 v14, v15, v7
	s_and_b32 s73, s1, s0
	s_and_b32 s74, s2, s0
	v_or_b32_e32 v19, v4, v49
	s_and_b32 s4, s73, s4
	v_add_nc_u32_e32 v12, v4, v18
	s_wait_alu 0xfffe
	s_and_b32 s58, s4, vcc_lo
	v_cmp_lt_i32_e64 s4, -1, v14
	v_add_nc_u32_e32 v14, v55, v18
	v_or_b32_e32 v31, v17, v23
	v_add_nc_u32_e32 v17, v49, v16
	v_add_nc_u32_e32 v16, v57, v18
	s_and_b32 s4, s74, s4
	v_or_b32_e32 v18, v19, v7
	s_wait_alu 0xfffe
	s_and_b32 s59, s4, vcc_lo
	v_cmp_lt_i32_e64 s4, -1, v20
	s_and_b32 s75, s3, s0
	v_or_b32_e32 v21, v55, v49
	v_cmp_gt_i32_e64 s0, s10, v49
	v_or_b32_e32 v22, v57, v49
	s_and_b32 s4, s75, s4
	v_or_b32_e32 v25, v9, v23
	s_wait_alu 0xfffe
	s_and_b32 s60, s4, vcc_lo
	v_cmp_lt_i32_e64 s4, -1, v18
	v_or_b32_e32 v20, v21, v7
	s_and_b32 s76, s1, s0
	v_or_b32_e32 v7, v22, v7
	s_and_b32 s77, s2, s0
	s_and_b32 s1, s76, s4
	;; [unrolled: 1-line block ×3, first 2 shown]
	s_wait_alu 0xfffe
	s_and_b32 s4, s1, vcc_lo
	v_cmp_lt_i32_e64 s1, -1, v20
	v_cmp_lt_i32_e64 s0, -1, v24
	v_or_b32_e32 v26, v11, v23
	v_or_b32_e32 v27, v13, v23
	;; [unrolled: 1-line block ×3, first 2 shown]
	s_and_b32 s1, s77, s1
	s_and_b32 s0, s70, s0
	s_wait_alu 0xfffe
	s_and_b32 s2, s1, vcc_lo
	v_cmp_lt_i32_e64 s1, -1, v7
	v_or_b32_e32 v33, v19, v23
	v_mul_lo_u32 v32, v23, s10
	v_or_b32_e32 v38, v21, v23
	v_or_b32_e32 v39, v22, v23
	s_and_b32 s1, s78, s1
	v_mul_lo_u32 v28, v17, s11
	s_wait_alu 0xfffe
	s_and_b32 s3, s1, vcc_lo
	v_cmp_gt_i32_e32 vcc_lo, s9, v23
	v_cmp_lt_i32_e64 s1, -1, v25
	v_add_nc_u32_e32 v7, v37, v32
	v_or_b32_e32 v43, v9, v41
	v_or_b32_e32 v58, v22, v41
	s_and_b32 s61, s0, vcc_lo
	v_cmp_lt_i32_e64 s0, -1, v26
	s_and_b32 s1, s71, s1
	v_mul_lo_u32 v7, v7, s11
	s_wait_alu 0xfffe
	s_and_b32 s62, s1, vcc_lo
	v_add_nc_u32_e32 v18, v4, v28
	s_and_b32 s1, s72, s0
	v_cmp_lt_i32_e64 s0, -1, v27
	s_wait_alu 0xfffe
	s_and_b32 s63, s1, vcc_lo
	v_cmp_lt_i32_e64 s1, -1, v29
	v_add_nc_u32_e32 v20, v55, v28
	v_add_nc_u32_e32 v22, v57, v28
	s_and_b32 s0, s73, s0
	v_add_nc_u32_e32 v28, v44, v32
	s_wait_alu 0xfffe
	s_and_b32 s64, s0, vcc_lo
	v_cmp_lt_i32_e64 s0, -1, v31
	s_and_b32 s1, s74, s1
	v_or_b32_e32 v45, v11, v41
	s_wait_alu 0xfffe
	s_and_b32 s65, s1, vcc_lo
	v_add_nc_u32_e32 v24, v4, v7
	s_and_b32 s1, s75, s0
	v_cmp_lt_i32_e64 s0, -1, v33
	s_wait_alu 0xfffe
	s_and_b32 s66, s1, vcc_lo
	v_cmp_lt_i32_e64 s1, -1, v39
	v_add_nc_u32_e32 v26, v55, v7
	v_mul_lo_u32 v34, v28, s11
	s_and_b32 s0, s76, s0
	v_add_nc_u32_e32 v28, v57, v7
	s_wait_alu 0xfffe
	s_and_b32 s67, s0, vcc_lo
	v_cmp_lt_i32_e64 s0, -1, v38
	s_and_b32 s1, s78, s1
	v_add_nc_u32_e32 v7, v49, v32
	s_wait_alu 0xfffe
	s_and_b32 s69, s1, vcc_lo
	v_mul_lo_u32 v52, v41, s10
	s_and_b32 s0, s77, s0
	v_or_b32_e32 v47, v15, v41
	s_wait_alu 0xfffe
	s_and_b32 s68, s0, vcc_lo
	v_cmp_lt_i32_e64 s0, -1, v42
	v_cmp_gt_i32_e32 vcc_lo, s9, v41
	v_mul_lo_u32 v7, v7, s11
	v_or_b32_e32 v46, v13, v41
	v_add_nc_u32_e32 v40, v37, v52
	s_and_b32 s1, s70, s0
	v_cmp_lt_i32_e64 s0, -1, v43
	s_wait_alu 0xfffe
	s_and_b32 s70, s1, vcc_lo
	v_or_b32_e32 v51, v19, v41
	v_mul_lo_u32 v48, v40, s11
	v_add_nc_u32_e32 v36, v4, v7
	s_and_b32 s1, s71, s0
	v_cmp_lt_i32_e64 s0, -1, v45
	s_wait_alu 0xfffe
	s_and_b32 s71, s1, vcc_lo
	v_cmp_lt_i32_e64 s1, -1, v46
	v_add_nc_u32_e32 v38, v55, v7
	v_add_nc_u32_e32 v40, v57, v7
	s_and_b32 s0, s72, s0
	v_add_nc_u32_e32 v7, v44, v52
	s_wait_alu 0xfffe
	s_and_b32 s72, s0, vcc_lo
	v_cmp_lt_i32_e64 s0, -1, v47
	v_add_nc_u32_e32 v52, v49, v52
	s_and_b32 s1, s73, s1
	v_mul_lo_u32 v7, v7, s11
	s_wait_alu 0xfffe
	s_and_b32 s73, s1, vcc_lo
	s_and_b32 s0, s74, s0
	v_mul_lo_u32 v59, v52, s11
	s_wait_alu 0xfffe
	s_and_b32 s74, s0, vcc_lo
	v_cmp_lt_i32_e64 s0, -1, v50
	v_cmp_lt_i32_e64 s1, -1, v51
	v_or_b32_e32 v56, v21, v41
	v_add_nc_u32_e32 v5, v4, v10
	v_add_nc_u32_e32 v8, v55, v10
	s_and_b32 s0, s75, s0
	v_add_nc_u32_e32 v10, v57, v10
	s_wait_alu 0xfffe
	s_and_b32 s75, s0, vcc_lo
	s_and_b32 s0, s76, s1
	v_add_nc_u32_e32 v30, v4, v34
	v_add_nc_u32_e32 v32, v55, v34
	;; [unrolled: 1-line block ×9, first 2 shown]
	s_wait_alu 0xfffe
	s_and_b32 s76, s0, vcc_lo
	v_add_nc_u32_e32 v54, v4, v59
	v_cmp_lt_i32_e64 s0, -1, v56
	v_add_nc_u32_e32 v56, v55, v59
	v_cmp_lt_i32_e64 s1, -1, v58
	v_add_nc_u32_e32 v58, v57, v59
	v_ashrrev_i32_e32 v6, 31, v5
	v_ashrrev_i32_e32 v9, 31, v8
	;; [unrolled: 1-line block ×27, first 2 shown]
	v_mul_lo_u32 v4, s54, v64
	v_lshlrev_b64_e32 v[6:7], 1, v[5:6]
	v_lshlrev_b64_e32 v[8:9], 1, v[8:9]
	;; [unrolled: 1-line block ×27, first 2 shown]
	v_add_nc_u32_e32 v66, s8, v65
	s_and_b32 s0, s77, s0
	s_and_b32 s77, s78, s1
	s_wait_alu 0xfffe
	s_and_b32 s1, s0, vcc_lo
	s_and_b32 s78, s77, vcc_lo
	s_mov_b32 s77, 0
	s_branch .LBB29_7
.LBB29_6:                               ;   in Loop: Header=BB29_7 Depth=2
	s_wait_alu 0xfffe
	s_or_b32 exec_lo, exec_lo, s0
	s_wait_loadcnt 0x19
	v_lshlrev_b32_e32 v71, 16, v74
	v_lshlrev_b32_e32 v70, 16, v70
	v_add_nc_u32_e32 v65, 1, v65
	v_add_co_u32 v2, s0, v2, 54
	s_wait_alu 0xf1ff
	v_add_co_ci_u32_e64 v3, null, 0, v3, s0
	v_fmac_f32_e32 v69, v5, v70
	s_wait_loadcnt 0x18
	v_lshlrev_b32_e32 v5, 16, v76
	v_cmp_ge_i32_e32 vcc_lo, v65, v66
	s_delay_alu instid0(VALU_DEP_3) | instskip(SKIP_3) | instid1(VALU_DEP_2)
	v_dual_fmac_f32 v69, v75, v71 :: v_dual_add_nc_u32 v4, s31, v4
	s_wait_loadcnt 0x17
	v_lshlrev_b32_e32 v70, 16, v78
	s_or_b32 s77, vcc_lo, s77
	v_fmac_f32_e32 v69, v73, v5
	s_wait_loadcnt 0x16
	v_lshlrev_b32_e32 v5, 16, v80
	s_delay_alu instid0(VALU_DEP_2) | instskip(SKIP_1) | instid1(VALU_DEP_1)
	v_fmac_f32_e32 v69, v79, v70
	s_wait_loadcnt 0x15
	v_dual_fmac_f32 v69, v77, v5 :: v_dual_lshlrev_b32 v70, 16, v82
	s_wait_loadcnt 0x14
	v_lshlrev_b32_e32 v5, 16, v84
	s_delay_alu instid0(VALU_DEP_2) | instskip(SKIP_1) | instid1(VALU_DEP_1)
	v_fmac_f32_e32 v69, v83, v70
	s_wait_loadcnt 0x13
	v_dual_fmac_f32 v69, v81, v5 :: v_dual_lshlrev_b32 v70, 16, v86
	;; [unrolled: 6-line block ×10, first 2 shown]
	s_wait_loadcnt 0x2
	v_lshlrev_b32_e32 v5, 16, v120
	s_wait_loadcnt 0x1
	s_delay_alu instid0(VALU_DEP_2) | instskip(NEXT) | instid1(VALU_DEP_1)
	v_dual_fmac_f32 v69, v119, v70 :: v_dual_lshlrev_b32 v70, 16, v123
	v_fmac_f32_e32 v69, v117, v5
	s_wait_loadcnt 0x0
	v_lshlrev_b32_e32 v5, 16, v124
	s_delay_alu instid0(VALU_DEP_2) | instskip(NEXT) | instid1(VALU_DEP_1)
	v_fmac_f32_e32 v69, v122, v70
	v_fmac_f32_e32 v69, v121, v5
	s_and_not1_b32 exec_lo, exec_lo, s77
	s_cbranch_execz .LBB29_2
.LBB29_7:                               ;   Parent Loop BB29_4 Depth=1
                                        ; =>  This Inner Loop Header: Depth=2
	global_load_u16 v70, v[2:3], off
	v_ashrrev_i32_e32 v5, 31, v4
	s_delay_alu instid0(VALU_DEP_1) | instskip(SKIP_1) | instid1(VALU_DEP_2)
	v_lshlrev_b64_e32 v[71:72], 1, v[4:5]
	v_mov_b32_e32 v5, 0
	v_add_co_u32 v71, vcc_lo, v67, v71
	s_wait_alu 0xfffd
	s_delay_alu instid0(VALU_DEP_3)
	v_add_co_ci_u32_e64 v72, null, v68, v72, vcc_lo
	s_and_saveexec_b32 s0, s55
	s_cbranch_execz .LBB29_9
; %bb.8:                                ;   in Loop: Header=BB29_7 Depth=2
	v_add_co_u32 v73, vcc_lo, v71, v6
	s_wait_alu 0xfffd
	v_add_co_ci_u32_e64 v74, null, v72, v7, vcc_lo
	global_load_u16 v5, v[73:74], off
	s_wait_loadcnt 0x0
	v_lshlrev_b32_e32 v5, 16, v5
.LBB29_9:                               ;   in Loop: Header=BB29_7 Depth=2
	s_wait_alu 0xfffe
	s_or_b32 exec_lo, exec_lo, s0
	global_load_u16 v74, v[2:3], off offset:2
	v_mov_b32_e32 v73, 0
	v_mov_b32_e32 v75, 0
	s_and_saveexec_b32 s0, s56
	s_cbranch_execz .LBB29_11
; %bb.10:                               ;   in Loop: Header=BB29_7 Depth=2
	v_add_co_u32 v75, vcc_lo, v71, v8
	s_wait_alu 0xfffd
	v_add_co_ci_u32_e64 v76, null, v72, v9, vcc_lo
	global_load_u16 v75, v[75:76], off
	s_wait_loadcnt 0x0
	v_lshlrev_b32_e32 v75, 16, v75
.LBB29_11:                              ;   in Loop: Header=BB29_7 Depth=2
	s_wait_alu 0xfffe
	s_or_b32 exec_lo, exec_lo, s0
	global_load_u16 v76, v[2:3], off offset:4
	s_and_saveexec_b32 s0, s57
	s_cbranch_execz .LBB29_13
; %bb.12:                               ;   in Loop: Header=BB29_7 Depth=2
	v_add_co_u32 v77, vcc_lo, v71, v10
	s_wait_alu 0xfffd
	v_add_co_ci_u32_e64 v78, null, v72, v11, vcc_lo
	global_load_u16 v73, v[77:78], off
	s_wait_loadcnt 0x0
	v_lshlrev_b32_e32 v73, 16, v73
.LBB29_13:                              ;   in Loop: Header=BB29_7 Depth=2
	s_wait_alu 0xfffe
	s_or_b32 exec_lo, exec_lo, s0
	global_load_u16 v78, v[2:3], off offset:6
	v_mov_b32_e32 v77, 0
	v_mov_b32_e32 v79, 0
	s_and_saveexec_b32 s0, s58
	s_cbranch_execz .LBB29_15
; %bb.14:                               ;   in Loop: Header=BB29_7 Depth=2
	v_add_co_u32 v79, vcc_lo, v71, v12
	s_wait_alu 0xfffd
	v_add_co_ci_u32_e64 v80, null, v72, v13, vcc_lo
	global_load_u16 v79, v[79:80], off
	s_wait_loadcnt 0x0
	v_lshlrev_b32_e32 v79, 16, v79
.LBB29_15:                              ;   in Loop: Header=BB29_7 Depth=2
	s_wait_alu 0xfffe
	s_or_b32 exec_lo, exec_lo, s0
	global_load_u16 v80, v[2:3], off offset:8
	s_and_saveexec_b32 s0, s59
	s_cbranch_execz .LBB29_17
; %bb.16:                               ;   in Loop: Header=BB29_7 Depth=2
	v_add_co_u32 v81, vcc_lo, v71, v14
	s_wait_alu 0xfffd
	v_add_co_ci_u32_e64 v82, null, v72, v15, vcc_lo
	global_load_u16 v77, v[81:82], off
	s_wait_loadcnt 0x0
	v_lshlrev_b32_e32 v77, 16, v77
.LBB29_17:                              ;   in Loop: Header=BB29_7 Depth=2
	;; [unrolled: 28-line block ×12, first 2 shown]
	s_wait_alu 0xfffe
	s_or_b32 exec_lo, exec_lo, s0
	global_load_u16 v123, v[2:3], off offset:50
	v_dual_mov_b32 v121, 0 :: v_dual_mov_b32 v122, 0
	s_and_saveexec_b32 s0, s1
	s_cbranch_execz .LBB29_59
; %bb.58:                               ;   in Loop: Header=BB29_7 Depth=2
	v_add_co_u32 v124, vcc_lo, v71, v56
	s_wait_alu 0xfffd
	v_add_co_ci_u32_e64 v125, null, v72, v57, vcc_lo
	global_load_u16 v122, v[124:125], off
	s_wait_loadcnt 0x0
	v_lshlrev_b32_e32 v122, 16, v122
.LBB29_59:                              ;   in Loop: Header=BB29_7 Depth=2
	s_wait_alu 0xfffe
	s_or_b32 exec_lo, exec_lo, s0
	global_load_u16 v124, v[2:3], off offset:52
	s_and_saveexec_b32 s0, s78
	s_cbranch_execz .LBB29_6
; %bb.60:                               ;   in Loop: Header=BB29_7 Depth=2
	v_add_co_u32 v71, vcc_lo, v71, v58
	s_wait_alu 0xfffd
	v_add_co_ci_u32_e64 v72, null, v72, v59, vcc_lo
	global_load_u16 v71, v[71:72], off
	s_wait_loadcnt 0x0
	v_lshlrev_b32_e32 v121, 16, v71
	s_branch .LBB29_6
.LBB29_61:                              ;   in Loop: Header=BB29_4 Depth=1
	v_mov_b32_e32 v69, 0
	s_branch .LBB29_3
.LBB29_62:
	s_nop 0
	s_sendmsg sendmsg(MSG_DEALLOC_VGPRS)
	s_endpgm
	.section	.rodata,"a",@progbits
	.p2align	6, 0x0
	.amdhsa_kernel _ZN2at6native12_GLOBAL__N_143conv_depthwise3d_cuda_backward_input_kernelIN3c108BFloat16EfLi3ELi3ELi3ELin1ELin1ELin1ELi1ELi1ELi1EEEvN5torch10headeronly6detail27GenericPackedTensorAccessorINS7_14TensorAccessorINS3_8ArrayRefIlEEKT_Lm4ENS6_16DefaultPtrTraitsEiEENS_6detail16IndexBoundsCheckILm5EiEESD_Lm5ESE_iEENS8_INS9_ISB_SC_Lm4ESE_iEESI_SC_Lm5ESE_iEESJ_iiiiiiiii
		.amdhsa_group_segment_fixed_size 0
		.amdhsa_private_segment_fixed_size 0
		.amdhsa_kernarg_size 440
		.amdhsa_user_sgpr_count 2
		.amdhsa_user_sgpr_dispatch_ptr 0
		.amdhsa_user_sgpr_queue_ptr 0
		.amdhsa_user_sgpr_kernarg_segment_ptr 1
		.amdhsa_user_sgpr_dispatch_id 0
		.amdhsa_user_sgpr_private_segment_size 0
		.amdhsa_wavefront_size32 1
		.amdhsa_uses_dynamic_stack 0
		.amdhsa_enable_private_segment 0
		.amdhsa_system_sgpr_workgroup_id_x 1
		.amdhsa_system_sgpr_workgroup_id_y 0
		.amdhsa_system_sgpr_workgroup_id_z 0
		.amdhsa_system_sgpr_workgroup_info 0
		.amdhsa_system_vgpr_workitem_id 0
		.amdhsa_next_free_vgpr 126
		.amdhsa_next_free_sgpr 79
		.amdhsa_reserve_vcc 1
		.amdhsa_float_round_mode_32 0
		.amdhsa_float_round_mode_16_64 0
		.amdhsa_float_denorm_mode_32 3
		.amdhsa_float_denorm_mode_16_64 3
		.amdhsa_fp16_overflow 0
		.amdhsa_workgroup_processor_mode 1
		.amdhsa_memory_ordered 1
		.amdhsa_forward_progress 1
		.amdhsa_inst_pref_size 41
		.amdhsa_round_robin_scheduling 0
		.amdhsa_exception_fp_ieee_invalid_op 0
		.amdhsa_exception_fp_denorm_src 0
		.amdhsa_exception_fp_ieee_div_zero 0
		.amdhsa_exception_fp_ieee_overflow 0
		.amdhsa_exception_fp_ieee_underflow 0
		.amdhsa_exception_fp_ieee_inexact 0
		.amdhsa_exception_int_div_zero 0
	.end_amdhsa_kernel
	.section	.text._ZN2at6native12_GLOBAL__N_143conv_depthwise3d_cuda_backward_input_kernelIN3c108BFloat16EfLi3ELi3ELi3ELin1ELin1ELin1ELi1ELi1ELi1EEEvN5torch10headeronly6detail27GenericPackedTensorAccessorINS7_14TensorAccessorINS3_8ArrayRefIlEEKT_Lm4ENS6_16DefaultPtrTraitsEiEENS_6detail16IndexBoundsCheckILm5EiEESD_Lm5ESE_iEENS8_INS9_ISB_SC_Lm4ESE_iEESI_SC_Lm5ESE_iEESJ_iiiiiiiii,"axG",@progbits,_ZN2at6native12_GLOBAL__N_143conv_depthwise3d_cuda_backward_input_kernelIN3c108BFloat16EfLi3ELi3ELi3ELin1ELin1ELin1ELi1ELi1ELi1EEEvN5torch10headeronly6detail27GenericPackedTensorAccessorINS7_14TensorAccessorINS3_8ArrayRefIlEEKT_Lm4ENS6_16DefaultPtrTraitsEiEENS_6detail16IndexBoundsCheckILm5EiEESD_Lm5ESE_iEENS8_INS9_ISB_SC_Lm4ESE_iEESI_SC_Lm5ESE_iEESJ_iiiiiiiii,comdat
.Lfunc_end29:
	.size	_ZN2at6native12_GLOBAL__N_143conv_depthwise3d_cuda_backward_input_kernelIN3c108BFloat16EfLi3ELi3ELi3ELin1ELin1ELin1ELi1ELi1ELi1EEEvN5torch10headeronly6detail27GenericPackedTensorAccessorINS7_14TensorAccessorINS3_8ArrayRefIlEEKT_Lm4ENS6_16DefaultPtrTraitsEiEENS_6detail16IndexBoundsCheckILm5EiEESD_Lm5ESE_iEENS8_INS9_ISB_SC_Lm4ESE_iEESI_SC_Lm5ESE_iEESJ_iiiiiiiii, .Lfunc_end29-_ZN2at6native12_GLOBAL__N_143conv_depthwise3d_cuda_backward_input_kernelIN3c108BFloat16EfLi3ELi3ELi3ELin1ELin1ELin1ELi1ELi1ELi1EEEvN5torch10headeronly6detail27GenericPackedTensorAccessorINS7_14TensorAccessorINS3_8ArrayRefIlEEKT_Lm4ENS6_16DefaultPtrTraitsEiEENS_6detail16IndexBoundsCheckILm5EiEESD_Lm5ESE_iEENS8_INS9_ISB_SC_Lm4ESE_iEESI_SC_Lm5ESE_iEESJ_iiiiiiiii
                                        ; -- End function
	.set _ZN2at6native12_GLOBAL__N_143conv_depthwise3d_cuda_backward_input_kernelIN3c108BFloat16EfLi3ELi3ELi3ELin1ELin1ELin1ELi1ELi1ELi1EEEvN5torch10headeronly6detail27GenericPackedTensorAccessorINS7_14TensorAccessorINS3_8ArrayRefIlEEKT_Lm4ENS6_16DefaultPtrTraitsEiEENS_6detail16IndexBoundsCheckILm5EiEESD_Lm5ESE_iEENS8_INS9_ISB_SC_Lm4ESE_iEESI_SC_Lm5ESE_iEESJ_iiiiiiiii.num_vgpr, 126
	.set _ZN2at6native12_GLOBAL__N_143conv_depthwise3d_cuda_backward_input_kernelIN3c108BFloat16EfLi3ELi3ELi3ELin1ELin1ELin1ELi1ELi1ELi1EEEvN5torch10headeronly6detail27GenericPackedTensorAccessorINS7_14TensorAccessorINS3_8ArrayRefIlEEKT_Lm4ENS6_16DefaultPtrTraitsEiEENS_6detail16IndexBoundsCheckILm5EiEESD_Lm5ESE_iEENS8_INS9_ISB_SC_Lm4ESE_iEESI_SC_Lm5ESE_iEESJ_iiiiiiiii.num_agpr, 0
	.set _ZN2at6native12_GLOBAL__N_143conv_depthwise3d_cuda_backward_input_kernelIN3c108BFloat16EfLi3ELi3ELi3ELin1ELin1ELin1ELi1ELi1ELi1EEEvN5torch10headeronly6detail27GenericPackedTensorAccessorINS7_14TensorAccessorINS3_8ArrayRefIlEEKT_Lm4ENS6_16DefaultPtrTraitsEiEENS_6detail16IndexBoundsCheckILm5EiEESD_Lm5ESE_iEENS8_INS9_ISB_SC_Lm4ESE_iEESI_SC_Lm5ESE_iEESJ_iiiiiiiii.numbered_sgpr, 79
	.set _ZN2at6native12_GLOBAL__N_143conv_depthwise3d_cuda_backward_input_kernelIN3c108BFloat16EfLi3ELi3ELi3ELin1ELin1ELin1ELi1ELi1ELi1EEEvN5torch10headeronly6detail27GenericPackedTensorAccessorINS7_14TensorAccessorINS3_8ArrayRefIlEEKT_Lm4ENS6_16DefaultPtrTraitsEiEENS_6detail16IndexBoundsCheckILm5EiEESD_Lm5ESE_iEENS8_INS9_ISB_SC_Lm4ESE_iEESI_SC_Lm5ESE_iEESJ_iiiiiiiii.num_named_barrier, 0
	.set _ZN2at6native12_GLOBAL__N_143conv_depthwise3d_cuda_backward_input_kernelIN3c108BFloat16EfLi3ELi3ELi3ELin1ELin1ELin1ELi1ELi1ELi1EEEvN5torch10headeronly6detail27GenericPackedTensorAccessorINS7_14TensorAccessorINS3_8ArrayRefIlEEKT_Lm4ENS6_16DefaultPtrTraitsEiEENS_6detail16IndexBoundsCheckILm5EiEESD_Lm5ESE_iEENS8_INS9_ISB_SC_Lm4ESE_iEESI_SC_Lm5ESE_iEESJ_iiiiiiiii.private_seg_size, 0
	.set _ZN2at6native12_GLOBAL__N_143conv_depthwise3d_cuda_backward_input_kernelIN3c108BFloat16EfLi3ELi3ELi3ELin1ELin1ELin1ELi1ELi1ELi1EEEvN5torch10headeronly6detail27GenericPackedTensorAccessorINS7_14TensorAccessorINS3_8ArrayRefIlEEKT_Lm4ENS6_16DefaultPtrTraitsEiEENS_6detail16IndexBoundsCheckILm5EiEESD_Lm5ESE_iEENS8_INS9_ISB_SC_Lm4ESE_iEESI_SC_Lm5ESE_iEESJ_iiiiiiiii.uses_vcc, 1
	.set _ZN2at6native12_GLOBAL__N_143conv_depthwise3d_cuda_backward_input_kernelIN3c108BFloat16EfLi3ELi3ELi3ELin1ELin1ELin1ELi1ELi1ELi1EEEvN5torch10headeronly6detail27GenericPackedTensorAccessorINS7_14TensorAccessorINS3_8ArrayRefIlEEKT_Lm4ENS6_16DefaultPtrTraitsEiEENS_6detail16IndexBoundsCheckILm5EiEESD_Lm5ESE_iEENS8_INS9_ISB_SC_Lm4ESE_iEESI_SC_Lm5ESE_iEESJ_iiiiiiiii.uses_flat_scratch, 0
	.set _ZN2at6native12_GLOBAL__N_143conv_depthwise3d_cuda_backward_input_kernelIN3c108BFloat16EfLi3ELi3ELi3ELin1ELin1ELin1ELi1ELi1ELi1EEEvN5torch10headeronly6detail27GenericPackedTensorAccessorINS7_14TensorAccessorINS3_8ArrayRefIlEEKT_Lm4ENS6_16DefaultPtrTraitsEiEENS_6detail16IndexBoundsCheckILm5EiEESD_Lm5ESE_iEENS8_INS9_ISB_SC_Lm4ESE_iEESI_SC_Lm5ESE_iEESJ_iiiiiiiii.has_dyn_sized_stack, 0
	.set _ZN2at6native12_GLOBAL__N_143conv_depthwise3d_cuda_backward_input_kernelIN3c108BFloat16EfLi3ELi3ELi3ELin1ELin1ELin1ELi1ELi1ELi1EEEvN5torch10headeronly6detail27GenericPackedTensorAccessorINS7_14TensorAccessorINS3_8ArrayRefIlEEKT_Lm4ENS6_16DefaultPtrTraitsEiEENS_6detail16IndexBoundsCheckILm5EiEESD_Lm5ESE_iEENS8_INS9_ISB_SC_Lm4ESE_iEESI_SC_Lm5ESE_iEESJ_iiiiiiiii.has_recursion, 0
	.set _ZN2at6native12_GLOBAL__N_143conv_depthwise3d_cuda_backward_input_kernelIN3c108BFloat16EfLi3ELi3ELi3ELin1ELin1ELin1ELi1ELi1ELi1EEEvN5torch10headeronly6detail27GenericPackedTensorAccessorINS7_14TensorAccessorINS3_8ArrayRefIlEEKT_Lm4ENS6_16DefaultPtrTraitsEiEENS_6detail16IndexBoundsCheckILm5EiEESD_Lm5ESE_iEENS8_INS9_ISB_SC_Lm4ESE_iEESI_SC_Lm5ESE_iEESJ_iiiiiiiii.has_indirect_call, 0
	.section	.AMDGPU.csdata,"",@progbits
; Kernel info:
; codeLenInByte = 5140
; TotalNumSgprs: 81
; NumVgprs: 126
; ScratchSize: 0
; MemoryBound: 0
; FloatMode: 240
; IeeeMode: 1
; LDSByteSize: 0 bytes/workgroup (compile time only)
; SGPRBlocks: 0
; VGPRBlocks: 15
; NumSGPRsForWavesPerEU: 81
; NumVGPRsForWavesPerEU: 126
; Occupancy: 10
; WaveLimiterHint : 0
; COMPUTE_PGM_RSRC2:SCRATCH_EN: 0
; COMPUTE_PGM_RSRC2:USER_SGPR: 2
; COMPUTE_PGM_RSRC2:TRAP_HANDLER: 0
; COMPUTE_PGM_RSRC2:TGID_X_EN: 1
; COMPUTE_PGM_RSRC2:TGID_Y_EN: 0
; COMPUTE_PGM_RSRC2:TGID_Z_EN: 0
; COMPUTE_PGM_RSRC2:TIDIG_COMP_CNT: 0
	.section	.text._ZN2at6native12_GLOBAL__N_143conv_depthwise3d_cuda_backward_input_kernelIN3c108BFloat16EfLi3ELi3ELi3ELin1ELin1ELin1ELin1ELin1ELin1EEEvN5torch10headeronly6detail27GenericPackedTensorAccessorINS7_14TensorAccessorINS3_8ArrayRefIlEEKT_Lm4ENS6_16DefaultPtrTraitsEiEENS_6detail16IndexBoundsCheckILm5EiEESD_Lm5ESE_iEENS8_INS9_ISB_SC_Lm4ESE_iEESI_SC_Lm5ESE_iEESJ_iiiiiiiii,"axG",@progbits,_ZN2at6native12_GLOBAL__N_143conv_depthwise3d_cuda_backward_input_kernelIN3c108BFloat16EfLi3ELi3ELi3ELin1ELin1ELin1ELin1ELin1ELin1EEEvN5torch10headeronly6detail27GenericPackedTensorAccessorINS7_14TensorAccessorINS3_8ArrayRefIlEEKT_Lm4ENS6_16DefaultPtrTraitsEiEENS_6detail16IndexBoundsCheckILm5EiEESD_Lm5ESE_iEENS8_INS9_ISB_SC_Lm4ESE_iEESI_SC_Lm5ESE_iEESJ_iiiiiiiii,comdat
	.globl	_ZN2at6native12_GLOBAL__N_143conv_depthwise3d_cuda_backward_input_kernelIN3c108BFloat16EfLi3ELi3ELi3ELin1ELin1ELin1ELin1ELin1ELin1EEEvN5torch10headeronly6detail27GenericPackedTensorAccessorINS7_14TensorAccessorINS3_8ArrayRefIlEEKT_Lm4ENS6_16DefaultPtrTraitsEiEENS_6detail16IndexBoundsCheckILm5EiEESD_Lm5ESE_iEENS8_INS9_ISB_SC_Lm4ESE_iEESI_SC_Lm5ESE_iEESJ_iiiiiiiii ; -- Begin function _ZN2at6native12_GLOBAL__N_143conv_depthwise3d_cuda_backward_input_kernelIN3c108BFloat16EfLi3ELi3ELi3ELin1ELin1ELin1ELin1ELin1ELin1EEEvN5torch10headeronly6detail27GenericPackedTensorAccessorINS7_14TensorAccessorINS3_8ArrayRefIlEEKT_Lm4ENS6_16DefaultPtrTraitsEiEENS_6detail16IndexBoundsCheckILm5EiEESD_Lm5ESE_iEENS8_INS9_ISB_SC_Lm4ESE_iEESI_SC_Lm5ESE_iEESJ_iiiiiiiii
	.p2align	8
	.type	_ZN2at6native12_GLOBAL__N_143conv_depthwise3d_cuda_backward_input_kernelIN3c108BFloat16EfLi3ELi3ELi3ELin1ELin1ELin1ELin1ELin1ELin1EEEvN5torch10headeronly6detail27GenericPackedTensorAccessorINS7_14TensorAccessorINS3_8ArrayRefIlEEKT_Lm4ENS6_16DefaultPtrTraitsEiEENS_6detail16IndexBoundsCheckILm5EiEESD_Lm5ESE_iEENS8_INS9_ISB_SC_Lm4ESE_iEESI_SC_Lm5ESE_iEESJ_iiiiiiiii,@function
_ZN2at6native12_GLOBAL__N_143conv_depthwise3d_cuda_backward_input_kernelIN3c108BFloat16EfLi3ELi3ELi3ELin1ELin1ELin1ELin1ELin1ELin1EEEvN5torch10headeronly6detail27GenericPackedTensorAccessorINS7_14TensorAccessorINS3_8ArrayRefIlEEKT_Lm4ENS6_16DefaultPtrTraitsEiEENS_6detail16IndexBoundsCheckILm5EiEESD_Lm5ESE_iEENS8_INS9_ISB_SC_Lm4ESE_iEESI_SC_Lm5ESE_iEESJ_iiiiiiiii: ; @_ZN2at6native12_GLOBAL__N_143conv_depthwise3d_cuda_backward_input_kernelIN3c108BFloat16EfLi3ELi3ELi3ELin1ELin1ELin1ELin1ELin1ELin1EEEvN5torch10headeronly6detail27GenericPackedTensorAccessorINS7_14TensorAccessorINS3_8ArrayRefIlEEKT_Lm4ENS6_16DefaultPtrTraitsEiEENS_6detail16IndexBoundsCheckILm5EiEESD_Lm5ESE_iEENS8_INS9_ISB_SC_Lm4ESE_iEESI_SC_Lm5ESE_iEESJ_iiiiiiiii
; %bb.0:
	s_clause 0x2
	s_load_b128 s[44:47], s[0:1], 0x38
	s_load_b32 s2, s[0:1], 0xc4
	s_load_b64 s[64:65], s[0:1], 0x48
	v_mov_b32_e32 v1, 0
                                        ; implicit-def: $vgpr125 : SGPR spill to VGPR lane
	s_wait_kmcnt 0x0
	s_abs_i32 s78, s45
	s_and_b32 s2, s2, 0xffff
	s_cvt_f32_u32 s3, s78
	v_mad_co_u64_u32 v[0:1], null, s2, ttmp9, v[0:1]
	s_mul_i32 s4, s65, s44
	s_delay_alu instid0(SALU_CYCLE_1) | instskip(SKIP_4) | instid1(TRANS32_DEP_1)
	v_rcp_iflag_f32_e32 v2, s3
	s_ashr_i32 s5, s4, 31
	v_writelane_b32 v125, s4, 0
	v_cmp_gt_i64_e32 vcc_lo, s[4:5], v[0:1]
	v_writelane_b32 v125, s5, 1
	v_readfirstlane_b32 s3, v2
	s_and_saveexec_b32 s4, vcc_lo
	s_cbranch_execz .LBB30_62
; %bb.1:
	s_clause 0x1
	s_load_b128 s[56:59], s[0:1], 0xc
	s_load_b64 s[6:7], s[0:1], 0x0
	s_mul_f32 s3, s3, 0x4f7ffffe
	s_sub_co_i32 s8, 0, s78
	s_load_b32 s11, s[0:1], 0x7c
	s_mov_b32 s69, 0
	s_cvt_u32_f32 s3, s3
	s_mov_b32 s5, s69
	s_ashr_i32 s71, s45, 31
	s_wait_alu 0xfffe
	s_mul_i32 s4, s8, s3
	s_wait_alu 0xfffe
	s_mul_hi_u32 s4, s3, s4
	s_wait_alu 0xfffe
	s_add_co_i32 s4, s3, s4
	s_wait_kmcnt 0x0
	s_abs_i32 s68, s56
	v_writelane_b32 v125, s6, 2
	s_wait_alu 0xfffe
	s_mul_u64 s[4:5], s[68:69], s[4:5]
	s_ashr_i32 s4, s56, 31
	s_wait_alu 0xfffe
	s_xor_b32 s4, s4, s71
	v_writelane_b32 v125, s7, 3
	s_add_nc_u64 s[6:7], s[0:1], 0xb8
	s_clause 0x1
	s_load_b256 s[48:55], s[0:1], 0x90
	s_load_b32 s10, s[0:1], 0xb0
	s_load_b32 s3, s[6:7], 0x0
	s_mul_i32 s6, s5, s78
	s_add_co_i32 s7, s5, 1
	s_wait_alu 0xfffe
	s_sub_co_i32 s6, s68, s6
	v_writelane_b32 v125, s11, 4
	s_wait_alu 0xfffe
	s_sub_co_i32 s9, s6, s78
	s_cmp_ge_u32 s6, s78
	s_clause 0x1
	s_load_b64 s[72:73], s[0:1], 0x1c
	s_load_b64 s[74:75], s[0:1], 0x30
	s_cselect_b32 s5, s7, s5
	s_cselect_b32 s6, s9, s6
	s_wait_alu 0xfffe
	s_add_co_i32 s7, s5, 1
	s_cmp_ge_u32 s6, s78
	s_clause 0x1
	s_load_b64 s[76:77], s[0:1], 0x60
	s_load_b128 s[60:63], s[0:1], 0x50
	s_cselect_b32 s5, s7, s5
	v_readfirstlane_b32 s6, v2
	s_wait_alu 0xfffe
	s_xor_b32 s5, s5, s4
	s_wait_alu 0xfffe
	s_sub_co_i32 s68, s5, s4
	s_delay_alu instid0(SALU_CYCLE_1)
	s_cmp_gt_i32 s68, 0
	s_wait_kmcnt 0x0
	s_mul_i32 s1, s3, s2
	s_mul_f32 s0, s6, 0x4f7ffffe
	s_wait_alu 0xfffe
	v_writelane_b32 v125, s1, 5
	s_cselect_b32 s1, -1, 0
	s_abs_i32 s86, s64
	s_abs_i32 s87, s47
	;; [unrolled: 1-line block ×3, first 2 shown]
	s_wait_alu 0xfffe
	v_writelane_b32 v125, s1, 6
	s_lshl_b32 s1, s10, 1
	s_cvt_f32_u32 s2, s87
	s_cvt_f32_u32 s3, s88
	s_ashr_i32 s4, s64, 31
	v_writelane_b32 v125, s10, 7
	s_wait_alu 0xfffe
	v_rcp_iflag_f32_e32 v3, s2
	v_rcp_iflag_f32_e32 v4, s3
	s_abs_i32 s92, s48
	s_sub_co_i32 s2, 0, s87
	v_writelane_b32 v125, s1, 8
	s_lshl_b32 s1, s55, 1
	s_cvt_f32_u32 s7, s92
	s_abs_i32 s93, s49
	s_abs_i32 s94, s50
	s_wait_alu 0xfffe
	v_writelane_b32 v125, s1, 9
	s_lshl_b32 s1, s54, 1
	v_readfirstlane_b32 s5, v4
	s_sub_co_i32 s6, 0, s88
	s_cvt_u32_f32 s0, s0
	s_wait_alu 0xfffe
	v_writelane_b32 v125, s1, 10
	s_cvt_f32_u32 s1, s86
	s_mul_f32 s5, s5, 0x4f7ffffe
	s_mul_i32 s8, s8, s0
	s_ashr_i32 s99, s48, 31
	s_wait_alu 0xfffe
	v_rcp_iflag_f32_e32 v2, s1
	v_writelane_b32 v125, s4, 11
	s_ashr_i32 s1, s47, 31
	v_readfirstlane_b32 s4, v3
	s_cvt_u32_f32 s5, s5
	s_ashr_i32 s101, s49, 31
	s_wait_alu 0xfffe
	v_writelane_b32 v125, s1, 12
	s_ashr_i32 s1, s46, 31
	s_mul_f32 s4, s4, 0x4f7ffffe
	s_mul_i32 s6, s6, s5
	v_readfirstlane_b32 s3, v2
	s_wait_alu 0xfffe
	v_writelane_b32 v125, s1, 13
	s_sub_co_i32 s1, 0, s86
	v_rcp_iflag_f32_e32 v2, s7
	s_cvt_u32_f32 s4, s4
	s_mul_f32 s3, s3, 0x4f7ffffe
	s_cvt_f32_u32 s7, s93
	s_ashr_i32 s103, s50, 31
	s_wait_alu 0xfffe
	s_mul_i32 s2, s2, s4
	s_cvt_u32_f32 s3, s3
	s_wait_alu 0xfffe
	s_mul_hi_u32 s2, s4, s2
	s_delay_alu instid0(SALU_CYCLE_1)
	s_mul_i32 s1, s1, s3
	s_wait_alu 0xfffe
	s_mul_hi_u32 s1, s3, s1
	s_wait_alu 0xfffe
	s_add_co_i32 s1, s3, s1
	s_mul_hi_u32 s3, s5, s6
	s_wait_alu 0xfffe
	v_writelane_b32 v125, s1, 14
	s_add_co_i32 s1, s4, s2
	s_cvt_f32_u32 s2, s94
	s_wait_alu 0xfffe
	v_writelane_b32 v125, s1, 15
	v_readfirstlane_b32 s1, v2
	v_rcp_iflag_f32_e32 v2, s7
	v_rcp_iflag_f32_e32 v3, s2
	s_add_co_i32 s2, s5, s3
	s_sub_co_i32 s3, 0, s92
	s_mul_f32 s1, s1, 0x4f7ffffe
	s_wait_alu 0xfffe
	v_writelane_b32 v125, s2, 16
	s_mul_hi_u32 s2, s0, s8
	s_cvt_u32_f32 s1, s1
	s_wait_alu 0xfffe
	s_add_co_i32 s0, s0, s2
	v_readfirstlane_b32 s4, v2
	s_wait_alu 0xfffe
	v_writelane_b32 v125, s0, 17
	v_readfirstlane_b32 s0, v3
	s_mul_i32 s3, s3, s1
	s_wait_alu 0xfffe
	s_mul_hi_u32 s2, s1, s3
	s_mul_f32 s3, s4, 0x4f7ffffe
	s_mul_f32 s0, s0, 0x4f7ffffe
	s_wait_alu 0xfffe
	s_add_co_i32 s100, s1, s2
	s_sub_co_i32 s2, 0, s93
	s_cvt_u32_f32 s1, s3
	s_cvt_u32_f32 s0, s0
	s_sub_co_i32 s3, 0, s94
	s_wait_alu 0xfffe
	s_mul_i32 s2, s2, s1
	s_mul_i32 s3, s3, s0
	s_wait_alu 0xfffe
	s_mul_hi_u32 s2, s1, s2
	s_wait_alu 0xfffe
	s_add_co_i32 s102, s1, s2
	s_mul_hi_u32 s1, s0, s3
	s_wait_alu 0xfffe
	s_add_co_i32 s104, s0, s1
	s_branch .LBB30_4
.LBB30_2:                               ;   in Loop: Header=BB30_4 Depth=1
	s_or_b32 exec_lo, exec_lo, s39
.LBB30_3:                               ;   in Loop: Header=BB30_4 Depth=1
	v_mul_lo_u32 v2, v63, s65
	v_mul_lo_u32 v4, s60, v64
	s_delay_alu instid0(VALU_DEP_3)
	v_bfe_u32 v5, v69, 16, 1
	v_mul_lo_u32 v6, s61, v62
	v_mul_lo_u32 v8, s62, v61
	;; [unrolled: 1-line block ×3, first 2 shown]
	v_readlane_b32 s0, v125, 5
	v_add3_u32 v12, v69, v5, 0x7fff
	v_ashrrev_i32_e32 v3, 31, v2
	v_ashrrev_i32_e32 v5, 31, v4
	;; [unrolled: 1-line block ×3, first 2 shown]
	s_delay_alu instid0(VALU_DEP_4) | instskip(NEXT) | instid1(VALU_DEP_4)
	v_lshrrev_b32_e32 v12, 16, v12
	v_lshlrev_b64_e32 v[2:3], 1, v[2:3]
	s_delay_alu instid0(VALU_DEP_4) | instskip(SKIP_2) | instid1(VALU_DEP_4)
	v_lshlrev_b64_e32 v[4:5], 1, v[4:5]
	v_ashrrev_i32_e32 v9, 31, v8
	v_ashrrev_i32_e32 v11, 31, v10
	v_add_co_u32 v13, vcc_lo, s74, v2
	s_wait_alu 0xfffd
	v_add_co_ci_u32_e64 v14, null, s75, v3, vcc_lo
	v_lshlrev_b64_e32 v[2:3], 1, v[6:7]
	s_delay_alu instid0(VALU_DEP_3) | instskip(SKIP_1) | instid1(VALU_DEP_3)
	v_add_co_u32 v4, vcc_lo, v13, v4
	s_wait_alu 0xfffd
	v_add_co_ci_u32_e64 v5, null, v14, v5, vcc_lo
	v_cmp_o_f32_e32 vcc_lo, v69, v69
	s_wait_alu 0xfffd
	v_cndmask_b32_e32 v6, 0x7fc0, v12, vcc_lo
	v_add_co_u32 v7, vcc_lo, v4, v2
	s_wait_alu 0xfffd
	v_add_co_ci_u32_e64 v12, null, v5, v3, vcc_lo
	v_lshlrev_b64_e32 v[2:3], 1, v[8:9]
	s_wait_alu 0xf1ff
	v_add_co_u32 v0, vcc_lo, v0, s0
	v_readlane_b32 s0, v125, 0
	v_lshlrev_b64_e32 v[4:5], 1, v[10:11]
	s_wait_alu 0xfffd
	v_add_co_ci_u32_e64 v1, null, 0, v1, vcc_lo
	v_readlane_b32 s1, v125, 1
	v_add_co_u32 v2, vcc_lo, v7, v2
	s_wait_alu 0xfffd
	v_add_co_ci_u32_e64 v3, null, v12, v3, vcc_lo
	s_wait_alu 0xf1ff
	v_cmp_le_i64_e32 vcc_lo, s[0:1], v[0:1]
	v_add_co_u32 v2, s0, v2, v4
	s_wait_alu 0xf1ff
	v_add_co_ci_u32_e64 v3, null, v3, v5, s0
	s_or_b32 s69, vcc_lo, s69
	global_store_b16 v[2:3], v6, off
	s_wait_alu 0xfffe
	s_and_not1_b32 exec_lo, exec_lo, s69
	s_cbranch_execz .LBB30_62
.LBB30_4:                               ; =>This Loop Header: Depth=1
                                        ;     Child Loop BB30_7 Depth 2
	v_sub_nc_u32_e32 v2, 0, v0
	v_readlane_b32 s0, v125, 14
	s_delay_alu instid0(VALU_DEP_2) | instskip(SKIP_1) | instid1(VALU_DEP_1)
	v_max_i32_e32 v2, v0, v2
	s_wait_alu 0xf1ff
	v_mul_hi_u32 v3, v2, s0
	v_readlane_b32 s0, v125, 11
	s_delay_alu instid0(VALU_DEP_2) | instskip(NEXT) | instid1(VALU_DEP_1)
	v_mul_lo_u32 v4, v3, s86
	v_sub_nc_u32_e32 v2, v2, v4
	v_add_nc_u32_e32 v4, 1, v3
	s_delay_alu instid0(VALU_DEP_2) | instskip(SKIP_2) | instid1(VALU_DEP_2)
	v_subrev_nc_u32_e32 v5, s86, v2
	v_cmp_le_u32_e32 vcc_lo, s86, v2
	s_wait_alu 0xfffd
	v_dual_cndmask_b32 v3, v3, v4 :: v_dual_cndmask_b32 v2, v2, v5
	v_ashrrev_i32_e32 v4, 31, v0
	s_delay_alu instid0(VALU_DEP_2) | instskip(NEXT) | instid1(VALU_DEP_3)
	v_add_nc_u32_e32 v5, 1, v3
	v_cmp_le_u32_e32 vcc_lo, s86, v2
	s_wait_alu 0xf1ff
	s_delay_alu instid0(VALU_DEP_3) | instskip(SKIP_3) | instid1(VALU_DEP_1)
	v_xor_b32_e32 v4, s0, v4
	v_readlane_b32 s0, v125, 15
	s_wait_alu 0xfffd
	v_cndmask_b32_e32 v2, v3, v5, vcc_lo
	v_xor_b32_e32 v2, v2, v4
	s_delay_alu instid0(VALU_DEP_1) | instskip(NEXT) | instid1(VALU_DEP_1)
	v_sub_nc_u32_e32 v2, v2, v4
	v_sub_nc_u32_e32 v3, 0, v2
	s_delay_alu instid0(VALU_DEP_1) | instskip(SKIP_1) | instid1(VALU_DEP_1)
	v_max_i32_e32 v3, v2, v3
	s_wait_alu 0xf1ff
	v_mul_hi_u32 v4, v3, s0
	v_readlane_b32 s0, v125, 12
	s_delay_alu instid0(VALU_DEP_2) | instskip(NEXT) | instid1(VALU_DEP_1)
	v_mul_lo_u32 v5, v4, s87
	v_sub_nc_u32_e32 v3, v3, v5
	v_add_nc_u32_e32 v5, 1, v4
	s_delay_alu instid0(VALU_DEP_2) | instskip(SKIP_2) | instid1(VALU_DEP_2)
	v_subrev_nc_u32_e32 v6, s87, v3
	v_cmp_le_u32_e32 vcc_lo, s87, v3
	s_wait_alu 0xfffd
	v_dual_cndmask_b32 v4, v4, v5 :: v_dual_cndmask_b32 v3, v3, v6
	v_ashrrev_i32_e32 v5, 31, v2
	s_delay_alu instid0(VALU_DEP_2) | instskip(NEXT) | instid1(VALU_DEP_3)
	v_add_nc_u32_e32 v6, 1, v4
	v_cmp_le_u32_e32 vcc_lo, s87, v3
	s_wait_alu 0xf1ff
	s_delay_alu instid0(VALU_DEP_3) | instskip(SKIP_3) | instid1(VALU_DEP_1)
	v_xor_b32_e32 v5, s0, v5
	v_readlane_b32 s0, v125, 16
	s_wait_alu 0xfffd
	v_cndmask_b32_e32 v3, v4, v6, vcc_lo
	v_xor_b32_e32 v3, v3, v5
	s_delay_alu instid0(VALU_DEP_1) | instskip(NEXT) | instid1(VALU_DEP_1)
	v_sub_nc_u32_e32 v3, v3, v5
	v_sub_nc_u32_e32 v4, 0, v3
	s_delay_alu instid0(VALU_DEP_1) | instskip(SKIP_1) | instid1(VALU_DEP_1)
	;; [unrolled: 28-line block ×3, first 2 shown]
	v_max_i32_e32 v5, v4, v5
	s_wait_alu 0xf1ff
	v_mul_hi_u32 v6, v5, s0
	v_readlane_b32 s0, v125, 6
	s_delay_alu instid0(VALU_DEP_2) | instskip(NEXT) | instid1(VALU_DEP_1)
	v_mul_lo_u32 v7, v6, s78
	v_sub_nc_u32_e32 v5, v5, v7
	v_add_nc_u32_e32 v7, 1, v6
	s_delay_alu instid0(VALU_DEP_2) | instskip(SKIP_2) | instid1(VALU_DEP_2)
	v_subrev_nc_u32_e32 v8, s78, v5
	v_cmp_le_u32_e32 vcc_lo, s78, v5
	s_wait_alu 0xfffd
	v_dual_cndmask_b32 v6, v6, v7 :: v_dual_cndmask_b32 v5, v5, v8
	v_ashrrev_i32_e32 v7, 31, v4
	s_delay_alu instid0(VALU_DEP_2) | instskip(NEXT) | instid1(VALU_DEP_3)
	v_add_nc_u32_e32 v8, 1, v6
	v_cmp_le_u32_e32 vcc_lo, s78, v5
	s_delay_alu instid0(VALU_DEP_3) | instskip(SKIP_1) | instid1(VALU_DEP_3)
	v_xor_b32_e32 v7, s71, v7
	s_wait_alu 0xfffd
	v_cndmask_b32_e32 v5, v6, v8, vcc_lo
	v_mul_lo_u32 v6, v3, s47
	s_and_not1_b32 vcc_lo, exec_lo, s0
	s_delay_alu instid0(VALU_DEP_2) | instskip(NEXT) | instid1(VALU_DEP_2)
	v_xor_b32_e32 v5, v5, v7
	v_sub_nc_u32_e32 v61, v2, v6
	s_delay_alu instid0(VALU_DEP_2) | instskip(SKIP_2) | instid1(VALU_DEP_3)
	v_sub_nc_u32_e32 v63, v5, v7
	v_mul_lo_u32 v5, v2, s64
	v_mul_lo_u32 v7, v4, s46
	;; [unrolled: 1-line block ×3, first 2 shown]
	s_delay_alu instid0(VALU_DEP_3) | instskip(NEXT) | instid1(VALU_DEP_3)
	v_sub_nc_u32_e32 v60, v0, v5
	v_sub_nc_u32_e32 v62, v3, v7
	s_delay_alu instid0(VALU_DEP_3)
	v_sub_nc_u32_e32 v64, v4, v8
	s_wait_alu 0xfffe
	s_cbranch_vccnz .LBB30_61
; %bb.5:                                ;   in Loop: Header=BB30_4 Depth=1
	v_add_nc_u32_e32 v5, s53, v60
	s_delay_alu instid0(VALU_DEP_2)
	v_mul_lo_u32 v65, v64, s68
	v_readlane_b32 s0, v125, 4
	v_readlane_b32 s1, v125, 9
	;; [unrolled: 1-line block ×3, first 2 shown]
	v_sub_nc_u32_e32 v2, 0, v5
	v_add_nc_u32_e32 v10, s52, v61
	s_delay_alu instid0(VALU_DEP_2) | instskip(NEXT) | instid1(VALU_DEP_1)
	v_max_i32_e32 v2, v5, v2
	v_mul_hi_u32 v3, v2, s104
	s_delay_alu instid0(VALU_DEP_1) | instskip(NEXT) | instid1(VALU_DEP_1)
	v_mul_lo_u32 v4, v3, s94
	v_sub_nc_u32_e32 v2, v2, v4
	v_add_nc_u32_e32 v4, 1, v3
	s_delay_alu instid0(VALU_DEP_2) | instskip(SKIP_2) | instid1(VALU_DEP_2)
	v_subrev_nc_u32_e32 v6, s94, v2
	v_cmp_le_u32_e32 vcc_lo, s94, v2
	s_wait_alu 0xfffd
	v_dual_cndmask_b32 v6, v2, v6 :: v_dual_cndmask_b32 v3, v3, v4
	v_ashrrev_i32_e32 v4, 31, v5
	s_wait_alu 0xf1ff
	v_mul_lo_u32 v2, s0, v65
	v_readlane_b32 s0, v125, 7
	v_cmp_le_u32_e32 vcc_lo, s94, v6
	v_add_nc_u32_e32 v7, 1, v3
	v_xor_b32_e32 v4, s103, v4
	s_wait_alu 0xfffd
	s_delay_alu instid0(VALU_DEP_2) | instskip(SKIP_3) | instid1(VALU_DEP_3)
	v_cndmask_b32_e32 v3, v3, v7, vcc_lo
	s_wait_alu 0xf1ff
	v_subrev_nc_u32_e32 v7, s0, v5
	v_readlane_b32 s0, v125, 8
	v_xor_b32_e32 v6, v3, v4
	s_delay_alu instid0(VALU_DEP_3) | instskip(SKIP_1) | instid1(VALU_DEP_3)
	v_sub_nc_u32_e32 v9, 0, v7
	s_wait_alu 0xf1ff
	v_subrev_nc_u32_e32 v8, s0, v5
	v_ashrrev_i32_e32 v3, 31, v2
	v_sub_nc_u32_e32 v4, v6, v4
	v_max_i32_e32 v6, v7, v9
	s_delay_alu instid0(VALU_DEP_4) | instskip(NEXT) | instid1(VALU_DEP_4)
	v_sub_nc_u32_e32 v11, 0, v8
	v_lshlrev_b64_e32 v[2:3], 1, v[2:3]
	v_subrev_nc_u32_e32 v9, s55, v10
	v_mul_lo_u32 v12, v4, s50
	v_mul_hi_u32 v13, v6, s104
	v_max_i32_e32 v11, v8, v11
	v_cmp_gt_i32_e64 s42, s59, v4
	v_add_co_u32 v2, vcc_lo, s76, v2
	v_sub_nc_u32_e32 v14, 0, v9
	s_wait_alu 0xfffd
	v_add_co_ci_u32_e64 v3, null, s77, v3, vcc_lo
	v_mul_hi_u32 v15, v11, s104
	v_cmp_eq_u32_e32 vcc_lo, v12, v5
	v_mul_lo_u32 v5, v13, s94
	v_max_i32_e32 v12, v9, v14
	s_delay_alu instid0(VALU_DEP_4) | instskip(NEXT) | instid1(VALU_DEP_3)
	v_mul_lo_u32 v14, v15, s94
	v_sub_nc_u32_e32 v5, v6, v5
	s_delay_alu instid0(VALU_DEP_3) | instskip(NEXT) | instid1(VALU_DEP_2)
	v_mul_hi_u32 v6, v12, s102
	v_cmp_le_u32_e64 s0, s94, v5
	s_delay_alu instid0(VALU_DEP_4) | instskip(NEXT) | instid1(VALU_DEP_3)
	v_sub_nc_u32_e32 v11, v11, v14
	v_mul_lo_u32 v14, v6, s93
	s_delay_alu instid0(VALU_DEP_1) | instskip(SKIP_2) | instid1(VALU_DEP_1)
	v_sub_nc_u32_e32 v12, v12, v14
	v_add_nc_u32_e32 v14, 1, v13
	s_wait_alu 0xf1ff
	v_cndmask_b32_e64 v13, v13, v14, s0
	v_subrev_nc_u32_e32 v14, s94, v5
	s_delay_alu instid0(VALU_DEP_1) | instskip(SKIP_3) | instid1(VALU_DEP_1)
	v_cndmask_b32_e64 v5, v5, v14, s0
	v_subrev_nc_u32_e32 v14, s94, v11
	v_cmp_le_u32_e64 s0, s94, v11
	s_wait_alu 0xf1ff
	v_cndmask_b32_e64 v11, v11, v14, s0
	v_add_nc_u32_e32 v14, 1, v15
	s_delay_alu instid0(VALU_DEP_1) | instskip(SKIP_3) | instid1(VALU_DEP_1)
	v_cndmask_b32_e64 v14, v15, v14, s0
	v_subrev_nc_u32_e32 v15, s93, v12
	v_cmp_le_u32_e64 s0, s93, v12
	s_wait_alu 0xf1ff
	v_cndmask_b32_e64 v12, v12, v15, s0
	v_add_nc_u32_e32 v15, 1, v6
	s_delay_alu instid0(VALU_DEP_1) | instskip(SKIP_4) | instid1(VALU_DEP_2)
	v_cndmask_b32_e64 v15, v6, v15, s0
	v_add_nc_u32_e32 v6, 1, v13
	v_cmp_le_u32_e64 s0, s94, v5
	v_sub_nc_u32_e32 v5, 0, v10
	s_wait_alu 0xf1ff
	v_cndmask_b32_e64 v6, v13, v6, s0
	v_cmp_le_u32_e64 s0, s94, v11
	v_ashrrev_i32_e32 v11, 31, v7
	v_add_nc_u32_e32 v13, 1, v14
	v_max_i32_e32 v16, v10, v5
	s_delay_alu instid0(VALU_DEP_3) | instskip(SKIP_1) | instid1(VALU_DEP_3)
	v_xor_b32_e32 v5, s103, v11
	s_wait_alu 0xf1ff
	v_cndmask_b32_e64 v11, v14, v13, s0
	s_delay_alu instid0(VALU_DEP_3) | instskip(SKIP_2) | instid1(VALU_DEP_1)
	v_mul_hi_u32 v13, v16, s102
	v_cmp_le_u32_e64 s0, s93, v12
	v_xor_b32_e32 v6, v6, v5
	v_sub_nc_u32_e32 v5, v6, v5
	s_delay_alu instid0(VALU_DEP_4) | instskip(NEXT) | instid1(VALU_DEP_2)
	v_mul_lo_u32 v6, v13, s93
	v_cmp_gt_i32_e64 s43, s59, v5
	s_delay_alu instid0(VALU_DEP_2) | instskip(SKIP_1) | instid1(VALU_DEP_2)
	v_sub_nc_u32_e32 v14, v16, v6
	v_ashrrev_i32_e32 v6, 31, v8
	v_subrev_nc_u32_e32 v12, s93, v14
	s_delay_alu instid0(VALU_DEP_2) | instskip(NEXT) | instid1(VALU_DEP_1)
	v_xor_b32_e32 v6, s103, v6
	v_xor_b32_e32 v11, v11, v6
	s_delay_alu instid0(VALU_DEP_1) | instskip(SKIP_1) | instid1(VALU_DEP_2)
	v_sub_nc_u32_e32 v6, v11, v6
	v_add_nc_u32_e32 v11, 1, v15
	v_cmp_gt_i32_e64 s44, s59, v6
	s_wait_alu 0xf1ff
	s_delay_alu instid0(VALU_DEP_2) | instskip(SKIP_3) | instid1(VALU_DEP_1)
	v_cndmask_b32_e64 v11, v15, v11, s0
	v_add_nc_u32_e32 v15, 1, v13
	v_cmp_le_u32_e64 s0, s93, v14
	s_wait_alu 0xf1ff
	v_cndmask_b32_e64 v12, v14, v12, s0
	v_ashrrev_i32_e32 v14, 31, v9
	v_cndmask_b32_e64 v13, v13, v15, s0
	v_mul_lo_u32 v15, v5, s50
	s_delay_alu instid0(VALU_DEP_3) | instskip(NEXT) | instid1(VALU_DEP_3)
	v_xor_b32_e32 v14, s101, v14
	v_add_nc_u32_e32 v16, 1, v13
	s_delay_alu instid0(VALU_DEP_3) | instskip(SKIP_1) | instid1(VALU_DEP_4)
	v_cmp_eq_u32_e64 s0, v15, v7
	v_subrev_nc_u32_e32 v15, s1, v10
	v_xor_b32_e32 v11, v11, v14
	v_cmp_le_u32_e64 s1, s93, v12
	s_delay_alu instid0(VALU_DEP_3) | instskip(NEXT) | instid1(VALU_DEP_3)
	v_sub_nc_u32_e32 v12, 0, v15
	v_sub_nc_u32_e32 v7, v11, v14
	v_mul_lo_u32 v11, v6, s50
	v_ashrrev_i32_e32 v14, 31, v10
	s_wait_alu 0xf1ff
	v_cndmask_b32_e64 v13, v13, v16, s1
	v_max_i32_e32 v12, v15, v12
	v_cmp_gt_i32_e64 s37, s58, v7
	v_xor_b32_e32 v14, s101, v14
	v_cmp_eq_u32_e64 s1, v11, v8
	s_delay_alu instid0(VALU_DEP_4)
	v_mul_hi_u32 v11, v12, s102
	s_and_b32 s95, s42, s37
	v_xor_b32_e32 v8, v13, v14
	v_mul_lo_u32 v13, v7, s49
	s_and_b32 s96, s43, s37
	s_and_b32 s97, s44, s37
	s_delay_alu instid0(VALU_DEP_2) | instskip(NEXT) | instid1(VALU_DEP_4)
	v_sub_nc_u32_e32 v8, v8, v14
	v_mul_lo_u32 v14, v11, s93
	s_delay_alu instid0(VALU_DEP_3) | instskip(NEXT) | instid1(VALU_DEP_3)
	v_cmp_eq_u32_e64 s8, v13, v9
	v_mul_lo_u32 v9, v8, s49
	v_add_nc_u32_e32 v13, s51, v62
	v_cmp_gt_i32_e64 s38, s58, v8
	v_sub_nc_u32_e32 v12, v12, v14
	v_add_nc_u32_e32 v14, 1, v11
	s_and_b32 s89, s42, s38
	v_cmp_eq_u32_e64 s21, v9, v10
	s_delay_alu instid0(VALU_DEP_3)
	v_subrev_nc_u32_e32 v9, s93, v12
	v_subrev_nc_u32_e32 v10, s54, v13
	v_cmp_le_u32_e64 s2, s93, v12
	s_and_b32 s90, s43, s38
	s_and_b32 s91, s44, s38
	v_cndmask_b32_e64 v9, v12, v9, s2
	v_sub_nc_u32_e32 v12, 0, v10
	v_cndmask_b32_e64 v11, v11, v14, s2
	s_delay_alu instid0(VALU_DEP_3) | instskip(NEXT) | instid1(VALU_DEP_3)
	v_cmp_le_u32_e64 s2, s93, v9
	v_max_i32_e32 v12, v10, v12
	s_delay_alu instid0(VALU_DEP_3) | instskip(NEXT) | instid1(VALU_DEP_2)
	v_add_nc_u32_e32 v14, 1, v11
	v_mul_hi_u32 v16, v12, s100
	s_wait_alu 0xf1ff
	s_delay_alu instid0(VALU_DEP_2) | instskip(NEXT) | instid1(VALU_DEP_2)
	v_cndmask_b32_e64 v9, v11, v14, s2
	v_mul_lo_u32 v11, v16, s92
	s_delay_alu instid0(VALU_DEP_1) | instskip(SKIP_1) | instid1(VALU_DEP_2)
	v_sub_nc_u32_e32 v11, v12, v11
	v_ashrrev_i32_e32 v12, 31, v15
	v_cmp_le_u32_e64 s2, s92, v11
	s_delay_alu instid0(VALU_DEP_2) | instskip(NEXT) | instid1(VALU_DEP_1)
	v_xor_b32_e32 v12, s101, v12
	v_xor_b32_e32 v9, v9, v12
	s_delay_alu instid0(VALU_DEP_1) | instskip(SKIP_1) | instid1(VALU_DEP_2)
	v_sub_nc_u32_e32 v9, v9, v12
	v_subrev_nc_u32_e32 v12, s92, v11
	v_mul_lo_u32 v14, v9, s49
	s_wait_alu 0xf1ff
	s_delay_alu instid0(VALU_DEP_2) | instskip(SKIP_2) | instid1(VALU_DEP_2)
	v_cndmask_b32_e64 v11, v11, v12, s2
	v_add_nc_u32_e32 v12, 1, v16
	v_cmp_gt_i32_e64 s36, s58, v9
	v_cndmask_b32_e64 v12, v16, v12, s2
	v_cmp_eq_u32_e64 s24, v14, v15
	v_sub_nc_u32_e32 v15, 0, v13
	v_cmp_le_u32_e64 s2, s92, v11
	v_ashrrev_i32_e32 v11, 31, v10
	v_add_nc_u32_e32 v14, 1, v12
	s_and_b32 s98, s42, s36
	v_max_i32_e32 v15, v13, v15
	s_and_b32 s66, s43, s36
	v_xor_b32_e32 v11, s99, v11
	s_wait_alu 0xf1ff
	v_cndmask_b32_e64 v12, v12, v14, s2
	s_and_b32 s67, s44, s36
	v_mul_hi_u32 v14, v15, s100
	s_delay_alu instid0(VALU_DEP_2) | instskip(NEXT) | instid1(VALU_DEP_1)
	v_xor_b32_e32 v12, v12, v11
	v_sub_nc_u32_e32 v12, v12, v11
	s_delay_alu instid0(VALU_DEP_3) | instskip(NEXT) | instid1(VALU_DEP_2)
	v_mul_lo_u32 v11, v14, s92
	v_cmp_gt_i32_e64 s33, s57, v12
	s_delay_alu instid0(VALU_DEP_2) | instskip(SKIP_1) | instid1(VALU_DEP_2)
	v_sub_nc_u32_e32 v11, v15, v11
	v_mul_lo_u32 v15, v12, s48
	v_cmp_le_u32_e64 s2, s92, v11
	s_delay_alu instid0(VALU_DEP_2) | instskip(SKIP_3) | instid1(VALU_DEP_2)
	v_cmp_eq_u32_e64 s18, v15, v10
	v_subrev_nc_u32_e32 v10, s92, v11
	v_subrev_nc_u32_e32 v15, s3, v13
	s_and_b32 s81, s18, s8
	v_cndmask_b32_e64 v10, v11, v10, s2
	v_add_nc_u32_e32 v11, 1, v14
	s_and_b32 s70, s18, s24
	s_delay_alu instid0(VALU_DEP_1) | instskip(SKIP_2) | instid1(VALU_DEP_2)
	v_cndmask_b32_e64 v11, v14, v11, s2
	v_sub_nc_u32_e32 v14, 0, v15
	v_cmp_le_u32_e64 s2, s92, v10
	v_max_i32_e32 v14, v15, v14
	s_delay_alu instid0(VALU_DEP_1) | instskip(NEXT) | instid1(VALU_DEP_1)
	v_mul_hi_u32 v16, v14, s100
	v_mul_lo_u32 v17, v16, s92
	s_delay_alu instid0(VALU_DEP_1) | instskip(SKIP_2) | instid1(VALU_DEP_1)
	v_sub_nc_u32_e32 v14, v14, v17
	v_add_nc_u32_e32 v17, 1, v11
	s_wait_alu 0xf1ff
	v_cndmask_b32_e64 v10, v11, v17, s2
	s_delay_alu instid0(VALU_DEP_3) | instskip(SKIP_2) | instid1(VALU_DEP_1)
	v_subrev_nc_u32_e32 v11, s92, v14
	v_cmp_le_u32_e64 s2, s92, v14
	s_wait_alu 0xf1ff
	v_cndmask_b32_e64 v11, v14, v11, s2
	v_add_nc_u32_e32 v14, 1, v16
	s_delay_alu instid0(VALU_DEP_1) | instskip(SKIP_1) | instid1(VALU_DEP_4)
	v_cndmask_b32_e64 v14, v16, v14, s2
	v_ashrrev_i32_e32 v16, 31, v13
	v_cmp_le_u32_e64 s2, s92, v11
	v_ashrrev_i32_e32 v11, 31, v15
	s_delay_alu instid0(VALU_DEP_3) | instskip(NEXT) | instid1(VALU_DEP_2)
	v_xor_b32_e32 v16, s99, v16
	v_xor_b32_e32 v11, s99, v11
	s_delay_alu instid0(VALU_DEP_2) | instskip(NEXT) | instid1(VALU_DEP_1)
	v_xor_b32_e32 v10, v10, v16
	v_sub_nc_u32_e32 v16, v10, v16
	v_add_nc_u32_e32 v10, 1, v14
	s_delay_alu instid0(VALU_DEP_2) | instskip(SKIP_1) | instid1(VALU_DEP_2)
	v_cmp_gt_i32_e64 s35, s57, v16
	s_wait_alu 0xf1ff
	v_cndmask_b32_e64 v10, v14, v10, s2
	v_readlane_b32 s2, v125, 2
	v_readlane_b32 s3, v125, 3
	s_delay_alu instid0(VALU_DEP_3) | instskip(NEXT) | instid1(VALU_DEP_1)
	v_xor_b32_e32 v10, v10, v11
	v_sub_nc_u32_e32 v14, v10, v11
	v_mul_lo_u32 v10, v16, s48
	s_delay_alu instid0(VALU_DEP_2) | instskip(NEXT) | instid1(VALU_DEP_2)
	v_cmp_gt_i32_e64 s28, s57, v14
	v_cmp_eq_u32_e64 s9, v10, v13
	v_mul_lo_u32 v10, v14, s48
	s_and_b32 s79, s9, s21
	s_delay_alu instid0(VALU_DEP_1) | instskip(SKIP_1) | instid1(VALU_DEP_1)
	v_cmp_eq_u32_e64 s27, v10, v15
	v_mul_lo_u32 v10, s72, v63
	v_ashrrev_i32_e32 v11, 31, v10
	s_delay_alu instid0(VALU_DEP_1) | instskip(NEXT) | instid1(VALU_DEP_1)
	v_lshlrev_b64_e32 v[10:11], 1, v[10:11]
	v_add_co_u32 v66, s2, s2, v10
	v_or_b32_e32 v10, v4, v8
	s_wait_alu 0xf1ff
	s_delay_alu instid0(VALU_DEP_3) | instskip(NEXT) | instid1(VALU_DEP_2)
	v_add_co_ci_u32_e64 v67, null, s3, v11, s2
	v_or_b32_e32 v11, v10, v16
	s_delay_alu instid0(VALU_DEP_1) | instskip(SKIP_3) | instid1(VALU_DEP_1)
	v_cmp_lt_i32_e64 s4, -1, v11
	v_or_b32_e32 v11, v5, v8
	s_wait_alu 0xfffe
	s_and_b32 s4, s89, s4
	v_or_b32_e32 v13, v11, v16
	s_wait_alu 0xfffe
	s_and_b32 vcc_hi, s4, s35
	s_delay_alu instid0(VALU_DEP_1) | instskip(SKIP_2) | instid1(VALU_DEP_1)
	v_cmp_lt_i32_e64 s2, -1, v13
	v_or_b32_e32 v13, v6, v8
	s_and_b32 s4, s90, s2
	v_or_b32_e32 v15, v13, v16
	s_wait_alu 0xfffe
	s_and_b32 s56, s4, s35
	s_and_b32 s2, s79, vcc_lo
	s_delay_alu instid0(VALU_DEP_1) | instskip(SKIP_2) | instid1(VALU_DEP_1)
	v_cmp_lt_i32_e64 s3, -1, v15
	v_or_b32_e32 v15, v4, v7
	s_and_b32 s4, s91, s3
	v_or_b32_e32 v17, v15, v16
	s_and_b32 s3, s79, s0
	s_wait_alu 0xfffe
	s_and_b32 s38, s4, s35
	s_and_b32 s4, s79, s1
	;; [unrolled: 1-line block ×3, first 2 shown]
	v_cmp_lt_i32_e64 s7, -1, v17
	v_or_b32_e32 v17, v5, v7
	s_and_b32 s7, s95, s7
	s_delay_alu instid0(VALU_DEP_1) | instskip(SKIP_2) | instid1(VALU_DEP_1)
	v_or_b32_e32 v18, v17, v16
	s_wait_alu 0xfffe
	s_and_b32 s83, s7, s35
	v_cmp_lt_i32_e64 s5, -1, v18
	v_or_b32_e32 v18, v6, v7
	s_and_b32 s7, s96, s5
	s_delay_alu instid0(VALU_DEP_1) | instskip(SKIP_3) | instid1(VALU_DEP_1)
	v_or_b32_e32 v19, v18, v16
	s_wait_alu 0xfffe
	s_and_b32 s84, s7, s35
	s_and_b32 s5, s79, vcc_lo
	v_cmp_lt_i32_e64 s6, -1, v19
	v_or_b32_e32 v19, v4, v9
	s_and_b32 s7, s97, s6
	s_delay_alu instid0(VALU_DEP_1)
	v_or_b32_e32 v20, v19, v16
	s_and_b32 s6, s79, s0
	s_wait_alu 0xfffe
	s_and_b32 s37, s7, s35
	s_and_b32 s7, s79, s1
	;; [unrolled: 1-line block ×3, first 2 shown]
	v_cmp_lt_i32_e64 s31, -1, v20
	v_or_b32_e32 v20, v5, v9
	s_wait_alu 0xfffe
	s_and_b32 s9, s79, vcc_lo
	s_and_b32 s24, s27, s24
	s_and_b32 s31, s98, s31
	v_or_b32_e32 v21, v20, v16
	s_and_b32 s31, s31, s35
	s_delay_alu instid0(VALU_DEP_1) | instskip(SKIP_2) | instid1(VALU_DEP_1)
	v_cmp_lt_i32_e64 s10, -1, v21
	v_or_b32_e32 v21, v6, v9
	s_and_b32 s10, s66, s10
	v_or_b32_e32 v22, v21, v16
	s_wait_alu 0xfffe
	s_and_b32 s42, s10, s35
	s_and_b32 s10, s79, s0
	s_delay_alu instid0(VALU_DEP_1) | instskip(SKIP_3) | instid1(VALU_DEP_2)
	v_cmp_lt_i32_e64 s11, -1, v22
	v_or_b32_e32 v22, v10, v12
	v_or_b32_e32 v10, v10, v14
	s_and_b32 s11, s67, s11
	v_cmp_lt_i32_e64 s14, -1, v22
	v_or_b32_e32 v22, v11, v12
	s_delay_alu instid0(VALU_DEP_3)
	v_cmp_lt_i32_e64 s22, -1, v10
	v_or_b32_e32 v10, v11, v14
	v_or_b32_e32 v11, v18, v14
	s_and_b32 s14, s89, s14
	v_cmp_lt_i32_e64 s12, -1, v22
	v_or_b32_e32 v22, v13, v12
	v_cmp_lt_i32_e64 s23, -1, v10
	v_or_b32_e32 v10, v13, v14
	v_or_b32_e32 v13, v19, v14
	v_cmp_lt_i32_e64 s34, -1, v11
	v_cmp_lt_i32_e64 s13, -1, v22
	v_or_b32_e32 v22, v15, v12
	v_cmp_lt_i32_e64 s26, -1, v10
	v_or_b32_e32 v10, v15, v14
	v_or_b32_e32 v15, v20, v14
	s_wait_alu 0xfffe
	s_and_b32 s36, s14, s33
	v_cmp_lt_i32_e64 s17, -1, v22
	v_or_b32_e32 v22, v17, v12
	v_cmp_lt_i32_e64 s29, -1, v10
	v_or_b32_e32 v10, v17, v14
	s_and_b32 s14, s90, s12
	s_and_b32 s17, s95, s17
	v_cmp_lt_i32_e64 s15, -1, v22
	v_or_b32_e32 v22, v18, v12
	v_cmp_lt_i32_e64 s30, -1, v10
	v_mul_lo_u32 v10, v16, s58
	v_or_b32_e32 v16, v21, v14
	v_mul_lo_u32 v14, v14, s58
	v_cmp_lt_i32_e64 s16, -1, v22
	v_or_b32_e32 v22, v19, v12
	s_wait_alu 0xfffe
	s_and_b32 s85, s17, s33
	s_and_b32 s17, s96, s15
	v_cmp_lt_i32_e64 s39, -1, v13
	v_add_nc_u32_e32 v17, v8, v10
	v_cmp_lt_i32_e64 s25, -1, v22
	v_or_b32_e32 v22, v20, v12
	v_add_nc_u32_e32 v18, v7, v10
	v_add_nc_u32_e32 v19, v9, v10
	;; [unrolled: 1-line block ×4, first 2 shown]
	v_cmp_lt_i32_e64 s20, -1, v22
	v_or_b32_e32 v22, v21, v12
	v_mul_lo_u32 v12, v12, s58
	v_add_nc_u32_e32 v53, v9, v14
	v_mul_lo_u32 v11, v17, s59
	v_mul_lo_u32 v17, v18, s59
	v_mul_lo_u32 v24, v19, s59
	v_mul_lo_u32 v48, v41, s59
	v_mul_lo_u32 v54, v47, s59
	v_mul_lo_u32 v58, v53, s59
	v_add_nc_u32_e32 v23, v8, v12
	v_add_nc_u32_e32 v29, v7, v12
	;; [unrolled: 1-line block ×3, first 2 shown]
	v_cmp_lt_i32_e64 s40, -1, v15
	v_add_nc_u32_e32 v7, v4, v11
	v_mul_lo_u32 v30, v23, s59
	v_mul_lo_u32 v36, v29, s59
	;; [unrolled: 1-line block ×3, first 2 shown]
	v_add_nc_u32_e32 v9, v5, v11
	v_add_nc_u32_e32 v11, v6, v11
	;; [unrolled: 1-line block ×7, first 2 shown]
	s_and_b32 s35, s11, s35
	v_add_nc_u32_e32 v23, v6, v24
	s_and_b32 s11, s79, s1
	s_and_b32 s79, s18, s21
	v_add_nc_u32_e32 v25, v4, v30
	s_and_b32 s43, s14, s33
	v_add_nc_u32_e32 v27, v5, v30
	;; [unrolled: 2-line block ×3, first 2 shown]
	v_add_nc_u32_e32 v31, v4, v36
	s_wait_alu 0xfffe
	s_and_b32 s80, s17, s33
	v_add_nc_u32_e32 v33, v5, v36
	s_and_b32 s17, s97, s16
	v_add_nc_u32_e32 v35, v6, v36
	;; [unrolled: 2-line block ×3, first 2 shown]
	v_add_nc_u32_e32 v39, v5, v42
	v_add_nc_u32_e32 v41, v6, v42
	s_and_b32 s22, s89, s22
	v_add_nc_u32_e32 v43, v4, v48
	v_add_nc_u32_e32 v45, v5, v48
	;; [unrolled: 1-line block ×8, first 2 shown]
	v_cmp_lt_i32_e64 s19, -1, v22
	s_and_b32 s12, s79, vcc_lo
	s_and_b32 s13, s79, s0
	s_and_b32 s44, s14, s33
	;; [unrolled: 1-line block ×3, first 2 shown]
	s_and_b32 s15, s81, vcc_lo
	s_and_b32 s16, s81, s0
	s_wait_alu 0xfffe
	s_and_b32 s79, s17, s33
	s_and_b32 s17, s81, s1
	;; [unrolled: 1-line block ×7, first 2 shown]
	v_add_nc_u32_e32 v68, v6, v58
	s_and_b32 s20, s66, s20
	s_wait_alu 0xfffe
	s_and_b32 s21, s25, vcc_lo
	s_and_b32 s90, s22, s28
	s_and_b32 s22, s25, s0
	s_and_b32 s91, s23, s28
	s_and_b32 s23, s25, s1
	s_and_b32 s25, s95, s29
	v_cmp_lt_i32_e64 s41, -1, v16
	v_ashrrev_i32_e32 v8, 31, v7
	v_ashrrev_i32_e32 v10, 31, v9
	;; [unrolled: 1-line block ×26, first 2 shown]
	s_and_b32 s82, s20, s33
	s_and_b32 s20, s67, s19
	;; [unrolled: 1-line block ×3, first 2 shown]
	s_wait_alu 0xfffe
	s_and_b32 s29, s25, s28
	s_and_b32 s25, s96, s30
	v_ashrrev_i32_e32 v69, 31, v68
	s_and_b32 s18, s70, vcc_lo
	s_and_b32 s19, s70, s0
	s_and_b32 s33, s20, s33
	;; [unrolled: 1-line block ×3, first 2 shown]
	s_and_b32 s8, s26, vcc_lo
	s_wait_alu 0xfffe
	s_and_b32 s30, s25, s28
	s_and_b32 s25, s26, s0
	;; [unrolled: 1-line block ×3, first 2 shown]
	s_and_b32 vcc_lo, s24, vcc_lo
	s_and_b32 s0, s24, s0
	s_and_b32 s1, s24, s1
	s_mul_i32 s24, s73, s68
	v_lshlrev_b64_e32 v[4:5], 1, v[7:8]
	v_lshlrev_b64_e32 v[6:7], 1, v[9:10]
	;; [unrolled: 1-line block ×26, first 2 shown]
	s_wait_alu 0xfffe
	v_mul_lo_u32 v58, s24, v64
	s_and_b32 s27, s66, s40
	v_lshlrev_b64_e32 v[56:57], 1, v[68:69]
	v_dual_mov_b32 v69, 0 :: v_dual_add_nc_u32 v68, s68, v65
	s_and_b32 s34, s97, s34
	s_and_b32 s70, s98, s39
	s_wait_alu 0xfffe
	s_and_b32 s40, s27, s28
	s_and_b32 s27, s67, s41
	;; [unrolled: 1-line block ×3, first 2 shown]
	s_mov_b32 s39, 0
	s_and_b32 s95, s70, s28
	s_wait_alu 0xfffe
	s_and_b32 s28, s27, s28
	s_branch .LBB30_7
.LBB30_6:                               ;   in Loop: Header=BB30_7 Depth=2
	s_wait_alu 0xfffe
	s_or_b32 exec_lo, exec_lo, s27
	s_wait_loadcnt 0x1a
	v_lshlrev_b32_e32 v70, 16, v70
	v_add_nc_u32_e32 v65, 1, v65
	v_add_co_u32 v2, s27, v2, 54
	s_wait_alu 0xf1ff
	v_add_co_ci_u32_e64 v3, null, 0, v3, s27
	v_fma_f32 v59, v59, v70, v69
	s_wait_loadcnt 0x5
	v_lshlrev_b32_e32 v70, 16, v114
	v_cmp_ge_i32_e64 s24, v65, v68
	v_add_nc_u32_e32 v58, s73, v58
	v_cndmask_b32_e64 v59, v69, v59, s2
	v_lshlrev_b32_e32 v69, 16, v73
	s_or_b32 s39, s24, s39
	s_delay_alu instid0(VALU_DEP_1) | instskip(NEXT) | instid1(VALU_DEP_1)
	v_fma_f32 v69, v75, v69, v59
	v_cndmask_b32_e64 v59, v59, v69, s3
	v_lshlrev_b32_e32 v69, 16, v76
	s_delay_alu instid0(VALU_DEP_1) | instskip(NEXT) | instid1(VALU_DEP_1)
	v_fma_f32 v69, v74, v69, v59
	v_cndmask_b32_e64 v59, v59, v69, s4
	v_lshlrev_b32_e32 v69, 16, v77
	;; [unrolled: 4-line block ×19, first 2 shown]
	s_delay_alu instid0(VALU_DEP_1) | instskip(NEXT) | instid1(VALU_DEP_1)
	v_fma_f32 v69, v110, v69, v59
	v_cndmask_b32_e64 v59, v59, v69, s23
	s_delay_alu instid0(VALU_DEP_1) | instskip(SKIP_2) | instid1(VALU_DEP_2)
	v_fma_f32 v69, v115, v70, v59
	s_wait_loadcnt 0x4
	v_lshlrev_b32_e32 v70, 16, v116
	v_cndmask_b32_e64 v59, v59, v69, s8
	s_delay_alu instid0(VALU_DEP_1) | instskip(SKIP_2) | instid1(VALU_DEP_2)
	v_fma_f32 v69, v113, v70, v59
	s_wait_loadcnt 0x3
	v_lshlrev_b32_e32 v70, 16, v118
	;; [unrolled: 5-line block ×3, first 2 shown]
	v_cndmask_b32_e64 v59, v59, v69, s26
	s_delay_alu instid0(VALU_DEP_1) | instskip(SKIP_1) | instid1(VALU_DEP_1)
	v_fma_f32 v69, v117, v70, v59
	s_wait_loadcnt 0x1
	v_dual_cndmask_b32 v59, v59, v69 :: v_dual_lshlrev_b32 v70, 16, v122
	s_delay_alu instid0(VALU_DEP_1) | instskip(SKIP_2) | instid1(VALU_DEP_2)
	v_fma_f32 v69, v123, v70, v59
	s_wait_loadcnt 0x0
	v_lshlrev_b32_e32 v70, 16, v124
	v_cndmask_b32_e64 v59, v59, v69, s0
	s_delay_alu instid0(VALU_DEP_1) | instskip(NEXT) | instid1(VALU_DEP_1)
	v_fma_f32 v69, v121, v70, v59
	v_cndmask_b32_e64 v69, v59, v69, s1
	s_and_not1_b32 exec_lo, exec_lo, s39
	s_cbranch_execz .LBB30_2
.LBB30_7:                               ;   Parent Loop BB30_4 Depth=1
                                        ; =>  This Inner Loop Header: Depth=2
	global_load_u16 v70, v[2:3], off
	v_ashrrev_i32_e32 v59, 31, v58
	s_delay_alu instid0(VALU_DEP_1) | instskip(SKIP_1) | instid1(VALU_DEP_2)
	v_lshlrev_b64_e32 v[71:72], 1, v[58:59]
	v_mov_b32_e32 v59, 0
	v_add_co_u32 v71, s24, v66, v71
	s_wait_alu 0xf1ff
	s_delay_alu instid0(VALU_DEP_3)
	v_add_co_ci_u32_e64 v72, null, v67, v72, s24
	s_and_saveexec_b32 s27, vcc_hi
	s_cbranch_execz .LBB30_9
; %bb.8:                                ;   in Loop: Header=BB30_7 Depth=2
	v_add_co_u32 v73, s24, v71, v4
	s_wait_alu 0xf1ff
	v_add_co_ci_u32_e64 v74, null, v72, v5, s24
	global_load_u16 v59, v[73:74], off
	s_wait_loadcnt 0x0
	v_lshlrev_b32_e32 v59, 16, v59
.LBB30_9:                               ;   in Loop: Header=BB30_7 Depth=2
	s_wait_alu 0xfffe
	s_or_b32 exec_lo, exec_lo, s27
	global_load_u16 v73, v[2:3], off offset:2
	v_dual_mov_b32 v74, 0 :: v_dual_mov_b32 v75, 0
	s_and_saveexec_b32 s27, s56
	s_cbranch_execz .LBB30_11
; %bb.10:                               ;   in Loop: Header=BB30_7 Depth=2
	v_add_co_u32 v75, s24, v71, v6
	s_wait_alu 0xf1ff
	v_add_co_ci_u32_e64 v76, null, v72, v7, s24
	global_load_u16 v75, v[75:76], off
	s_wait_loadcnt 0x0
	v_lshlrev_b32_e32 v75, 16, v75
.LBB30_11:                              ;   in Loop: Header=BB30_7 Depth=2
	s_wait_alu 0xfffe
	s_or_b32 exec_lo, exec_lo, s27
	global_load_u16 v76, v[2:3], off offset:4
	s_and_saveexec_b32 s27, s38
	s_cbranch_execz .LBB30_13
; %bb.12:                               ;   in Loop: Header=BB30_7 Depth=2
	v_add_co_u32 v77, s24, v71, v8
	s_wait_alu 0xf1ff
	v_add_co_ci_u32_e64 v78, null, v72, v9, s24
	global_load_u16 v74, v[77:78], off
	s_wait_loadcnt 0x0
	v_lshlrev_b32_e32 v74, 16, v74
.LBB30_13:                              ;   in Loop: Header=BB30_7 Depth=2
	s_wait_alu 0xfffe
	s_or_b32 exec_lo, exec_lo, s27
	global_load_u16 v77, v[2:3], off offset:6
	v_dual_mov_b32 v78, 0 :: v_dual_mov_b32 v79, 0
	s_and_saveexec_b32 s27, s83
	s_cbranch_execz .LBB30_15
; %bb.14:                               ;   in Loop: Header=BB30_7 Depth=2
	v_add_co_u32 v79, s24, v71, v10
	s_wait_alu 0xf1ff
	v_add_co_ci_u32_e64 v80, null, v72, v11, s24
	global_load_u16 v79, v[79:80], off
	s_wait_loadcnt 0x0
	v_lshlrev_b32_e32 v79, 16, v79
.LBB30_15:                              ;   in Loop: Header=BB30_7 Depth=2
	s_wait_alu 0xfffe
	s_or_b32 exec_lo, exec_lo, s27
	global_load_u16 v80, v[2:3], off offset:8
	s_and_saveexec_b32 s27, s84
	s_cbranch_execz .LBB30_17
; %bb.16:                               ;   in Loop: Header=BB30_7 Depth=2
	v_add_co_u32 v81, s24, v71, v12
	s_wait_alu 0xf1ff
	v_add_co_ci_u32_e64 v82, null, v72, v13, s24
	global_load_u16 v78, v[81:82], off
	s_wait_loadcnt 0x0
	v_lshlrev_b32_e32 v78, 16, v78
.LBB30_17:                              ;   in Loop: Header=BB30_7 Depth=2
	;; [unrolled: 27-line block ×10, first 2 shown]
	s_wait_alu 0xfffe
	s_or_b32 exec_lo, exec_lo, s27
	global_load_u16 v114, v[2:3], off offset:42
	v_mov_b32_e32 v113, 0
	v_mov_b32_e32 v115, 0
	s_and_saveexec_b32 s27, s29
	s_cbranch_execz .LBB30_51
; %bb.50:                               ;   in Loop: Header=BB30_7 Depth=2
	v_add_co_u32 v115, s24, v71, v46
	s_wait_alu 0xf1ff
	v_add_co_ci_u32_e64 v116, null, v72, v47, s24
	global_load_u16 v115, v[115:116], off
	s_wait_loadcnt 0x0
	v_lshlrev_b32_e32 v115, 16, v115
.LBB30_51:                              ;   in Loop: Header=BB30_7 Depth=2
	s_wait_alu 0xfffe
	s_or_b32 exec_lo, exec_lo, s27
	global_load_u16 v116, v[2:3], off offset:44
	s_and_saveexec_b32 s27, s30
	s_cbranch_execz .LBB30_53
; %bb.52:                               ;   in Loop: Header=BB30_7 Depth=2
	v_add_co_u32 v117, s24, v71, v48
	s_wait_alu 0xf1ff
	v_add_co_ci_u32_e64 v118, null, v72, v49, s24
	global_load_u16 v113, v[117:118], off
	s_wait_loadcnt 0x0
	v_lshlrev_b32_e32 v113, 16, v113
.LBB30_53:                              ;   in Loop: Header=BB30_7 Depth=2
	s_wait_alu 0xfffe
	s_or_b32 exec_lo, exec_lo, s27
	global_load_u16 v118, v[2:3], off offset:46
	v_mov_b32_e32 v117, 0
	v_mov_b32_e32 v119, 0
	s_and_saveexec_b32 s27, s34
	s_cbranch_execz .LBB30_55
; %bb.54:                               ;   in Loop: Header=BB30_7 Depth=2
	v_add_co_u32 v119, s24, v71, v50
	s_wait_alu 0xf1ff
	v_add_co_ci_u32_e64 v120, null, v72, v51, s24
	global_load_u16 v119, v[119:120], off
	s_wait_loadcnt 0x0
	v_lshlrev_b32_e32 v119, 16, v119
.LBB30_55:                              ;   in Loop: Header=BB30_7 Depth=2
	s_wait_alu 0xfffe
	s_or_b32 exec_lo, exec_lo, s27
	global_load_u16 v120, v[2:3], off offset:48
	s_and_saveexec_b32 s27, s95
	s_cbranch_execz .LBB30_57
; %bb.56:                               ;   in Loop: Header=BB30_7 Depth=2
	v_add_co_u32 v121, s24, v71, v52
	s_wait_alu 0xf1ff
	v_add_co_ci_u32_e64 v122, null, v72, v53, s24
	global_load_u16 v117, v[121:122], off
	s_wait_loadcnt 0x0
	v_lshlrev_b32_e32 v117, 16, v117
.LBB30_57:                              ;   in Loop: Header=BB30_7 Depth=2
	s_wait_alu 0xfffe
	s_or_b32 exec_lo, exec_lo, s27
	global_load_u16 v122, v[2:3], off offset:50
	v_mov_b32_e32 v121, 0
	v_mov_b32_e32 v123, 0
	s_and_saveexec_b32 s27, s40
	s_cbranch_execz .LBB30_59
; %bb.58:                               ;   in Loop: Header=BB30_7 Depth=2
	v_add_co_u32 v123, s24, v71, v54
	s_wait_alu 0xf1ff
	v_add_co_ci_u32_e64 v124, null, v72, v55, s24
	global_load_u16 v123, v[123:124], off
	s_wait_loadcnt 0x0
	v_lshlrev_b32_e32 v123, 16, v123
.LBB30_59:                              ;   in Loop: Header=BB30_7 Depth=2
	s_wait_alu 0xfffe
	s_or_b32 exec_lo, exec_lo, s27
	global_load_u16 v124, v[2:3], off offset:52
	s_and_saveexec_b32 s27, s28
	s_cbranch_execz .LBB30_6
; %bb.60:                               ;   in Loop: Header=BB30_7 Depth=2
	v_add_co_u32 v71, s24, v71, v56
	s_wait_alu 0xf1ff
	v_add_co_ci_u32_e64 v72, null, v72, v57, s24
	global_load_u16 v71, v[71:72], off
	s_wait_loadcnt 0x0
	v_lshlrev_b32_e32 v121, 16, v71
	s_branch .LBB30_6
.LBB30_61:                              ;   in Loop: Header=BB30_4 Depth=1
	v_mov_b32_e32 v69, 0
	s_branch .LBB30_3
.LBB30_62:
	s_nop 0
	s_sendmsg sendmsg(MSG_DEALLOC_VGPRS)
	s_endpgm
	.section	.rodata,"a",@progbits
	.p2align	6, 0x0
	.amdhsa_kernel _ZN2at6native12_GLOBAL__N_143conv_depthwise3d_cuda_backward_input_kernelIN3c108BFloat16EfLi3ELi3ELi3ELin1ELin1ELin1ELin1ELin1ELin1EEEvN5torch10headeronly6detail27GenericPackedTensorAccessorINS7_14TensorAccessorINS3_8ArrayRefIlEEKT_Lm4ENS6_16DefaultPtrTraitsEiEENS_6detail16IndexBoundsCheckILm5EiEESD_Lm5ESE_iEENS8_INS9_ISB_SC_Lm4ESE_iEESI_SC_Lm5ESE_iEESJ_iiiiiiiii
		.amdhsa_group_segment_fixed_size 0
		.amdhsa_private_segment_fixed_size 0
		.amdhsa_kernarg_size 440
		.amdhsa_user_sgpr_count 2
		.amdhsa_user_sgpr_dispatch_ptr 0
		.amdhsa_user_sgpr_queue_ptr 0
		.amdhsa_user_sgpr_kernarg_segment_ptr 1
		.amdhsa_user_sgpr_dispatch_id 0
		.amdhsa_user_sgpr_private_segment_size 0
		.amdhsa_wavefront_size32 1
		.amdhsa_uses_dynamic_stack 0
		.amdhsa_enable_private_segment 0
		.amdhsa_system_sgpr_workgroup_id_x 1
		.amdhsa_system_sgpr_workgroup_id_y 0
		.amdhsa_system_sgpr_workgroup_id_z 0
		.amdhsa_system_sgpr_workgroup_info 0
		.amdhsa_system_vgpr_workitem_id 0
		.amdhsa_next_free_vgpr 126
		.amdhsa_next_free_sgpr 105
		.amdhsa_reserve_vcc 1
		.amdhsa_float_round_mode_32 0
		.amdhsa_float_round_mode_16_64 0
		.amdhsa_float_denorm_mode_32 3
		.amdhsa_float_denorm_mode_16_64 3
		.amdhsa_fp16_overflow 0
		.amdhsa_workgroup_processor_mode 1
		.amdhsa_memory_ordered 1
		.amdhsa_forward_progress 1
		.amdhsa_inst_pref_size 59
		.amdhsa_round_robin_scheduling 0
		.amdhsa_exception_fp_ieee_invalid_op 0
		.amdhsa_exception_fp_denorm_src 0
		.amdhsa_exception_fp_ieee_div_zero 0
		.amdhsa_exception_fp_ieee_overflow 0
		.amdhsa_exception_fp_ieee_underflow 0
		.amdhsa_exception_fp_ieee_inexact 0
		.amdhsa_exception_int_div_zero 0
	.end_amdhsa_kernel
	.section	.text._ZN2at6native12_GLOBAL__N_143conv_depthwise3d_cuda_backward_input_kernelIN3c108BFloat16EfLi3ELi3ELi3ELin1ELin1ELin1ELin1ELin1ELin1EEEvN5torch10headeronly6detail27GenericPackedTensorAccessorINS7_14TensorAccessorINS3_8ArrayRefIlEEKT_Lm4ENS6_16DefaultPtrTraitsEiEENS_6detail16IndexBoundsCheckILm5EiEESD_Lm5ESE_iEENS8_INS9_ISB_SC_Lm4ESE_iEESI_SC_Lm5ESE_iEESJ_iiiiiiiii,"axG",@progbits,_ZN2at6native12_GLOBAL__N_143conv_depthwise3d_cuda_backward_input_kernelIN3c108BFloat16EfLi3ELi3ELi3ELin1ELin1ELin1ELin1ELin1ELin1EEEvN5torch10headeronly6detail27GenericPackedTensorAccessorINS7_14TensorAccessorINS3_8ArrayRefIlEEKT_Lm4ENS6_16DefaultPtrTraitsEiEENS_6detail16IndexBoundsCheckILm5EiEESD_Lm5ESE_iEENS8_INS9_ISB_SC_Lm4ESE_iEESI_SC_Lm5ESE_iEESJ_iiiiiiiii,comdat
.Lfunc_end30:
	.size	_ZN2at6native12_GLOBAL__N_143conv_depthwise3d_cuda_backward_input_kernelIN3c108BFloat16EfLi3ELi3ELi3ELin1ELin1ELin1ELin1ELin1ELin1EEEvN5torch10headeronly6detail27GenericPackedTensorAccessorINS7_14TensorAccessorINS3_8ArrayRefIlEEKT_Lm4ENS6_16DefaultPtrTraitsEiEENS_6detail16IndexBoundsCheckILm5EiEESD_Lm5ESE_iEENS8_INS9_ISB_SC_Lm4ESE_iEESI_SC_Lm5ESE_iEESJ_iiiiiiiii, .Lfunc_end30-_ZN2at6native12_GLOBAL__N_143conv_depthwise3d_cuda_backward_input_kernelIN3c108BFloat16EfLi3ELi3ELi3ELin1ELin1ELin1ELin1ELin1ELin1EEEvN5torch10headeronly6detail27GenericPackedTensorAccessorINS7_14TensorAccessorINS3_8ArrayRefIlEEKT_Lm4ENS6_16DefaultPtrTraitsEiEENS_6detail16IndexBoundsCheckILm5EiEESD_Lm5ESE_iEENS8_INS9_ISB_SC_Lm4ESE_iEESI_SC_Lm5ESE_iEESJ_iiiiiiiii
                                        ; -- End function
	.set _ZN2at6native12_GLOBAL__N_143conv_depthwise3d_cuda_backward_input_kernelIN3c108BFloat16EfLi3ELi3ELi3ELin1ELin1ELin1ELin1ELin1ELin1EEEvN5torch10headeronly6detail27GenericPackedTensorAccessorINS7_14TensorAccessorINS3_8ArrayRefIlEEKT_Lm4ENS6_16DefaultPtrTraitsEiEENS_6detail16IndexBoundsCheckILm5EiEESD_Lm5ESE_iEENS8_INS9_ISB_SC_Lm4ESE_iEESI_SC_Lm5ESE_iEESJ_iiiiiiiii.num_vgpr, 126
	.set _ZN2at6native12_GLOBAL__N_143conv_depthwise3d_cuda_backward_input_kernelIN3c108BFloat16EfLi3ELi3ELi3ELin1ELin1ELin1ELin1ELin1ELin1EEEvN5torch10headeronly6detail27GenericPackedTensorAccessorINS7_14TensorAccessorINS3_8ArrayRefIlEEKT_Lm4ENS6_16DefaultPtrTraitsEiEENS_6detail16IndexBoundsCheckILm5EiEESD_Lm5ESE_iEENS8_INS9_ISB_SC_Lm4ESE_iEESI_SC_Lm5ESE_iEESJ_iiiiiiiii.num_agpr, 0
	.set _ZN2at6native12_GLOBAL__N_143conv_depthwise3d_cuda_backward_input_kernelIN3c108BFloat16EfLi3ELi3ELi3ELin1ELin1ELin1ELin1ELin1ELin1EEEvN5torch10headeronly6detail27GenericPackedTensorAccessorINS7_14TensorAccessorINS3_8ArrayRefIlEEKT_Lm4ENS6_16DefaultPtrTraitsEiEENS_6detail16IndexBoundsCheckILm5EiEESD_Lm5ESE_iEENS8_INS9_ISB_SC_Lm4ESE_iEESI_SC_Lm5ESE_iEESJ_iiiiiiiii.numbered_sgpr, 105
	.set _ZN2at6native12_GLOBAL__N_143conv_depthwise3d_cuda_backward_input_kernelIN3c108BFloat16EfLi3ELi3ELi3ELin1ELin1ELin1ELin1ELin1ELin1EEEvN5torch10headeronly6detail27GenericPackedTensorAccessorINS7_14TensorAccessorINS3_8ArrayRefIlEEKT_Lm4ENS6_16DefaultPtrTraitsEiEENS_6detail16IndexBoundsCheckILm5EiEESD_Lm5ESE_iEENS8_INS9_ISB_SC_Lm4ESE_iEESI_SC_Lm5ESE_iEESJ_iiiiiiiii.num_named_barrier, 0
	.set _ZN2at6native12_GLOBAL__N_143conv_depthwise3d_cuda_backward_input_kernelIN3c108BFloat16EfLi3ELi3ELi3ELin1ELin1ELin1ELin1ELin1ELin1EEEvN5torch10headeronly6detail27GenericPackedTensorAccessorINS7_14TensorAccessorINS3_8ArrayRefIlEEKT_Lm4ENS6_16DefaultPtrTraitsEiEENS_6detail16IndexBoundsCheckILm5EiEESD_Lm5ESE_iEENS8_INS9_ISB_SC_Lm4ESE_iEESI_SC_Lm5ESE_iEESJ_iiiiiiiii.private_seg_size, 0
	.set _ZN2at6native12_GLOBAL__N_143conv_depthwise3d_cuda_backward_input_kernelIN3c108BFloat16EfLi3ELi3ELi3ELin1ELin1ELin1ELin1ELin1ELin1EEEvN5torch10headeronly6detail27GenericPackedTensorAccessorINS7_14TensorAccessorINS3_8ArrayRefIlEEKT_Lm4ENS6_16DefaultPtrTraitsEiEENS_6detail16IndexBoundsCheckILm5EiEESD_Lm5ESE_iEENS8_INS9_ISB_SC_Lm4ESE_iEESI_SC_Lm5ESE_iEESJ_iiiiiiiii.uses_vcc, 1
	.set _ZN2at6native12_GLOBAL__N_143conv_depthwise3d_cuda_backward_input_kernelIN3c108BFloat16EfLi3ELi3ELi3ELin1ELin1ELin1ELin1ELin1ELin1EEEvN5torch10headeronly6detail27GenericPackedTensorAccessorINS7_14TensorAccessorINS3_8ArrayRefIlEEKT_Lm4ENS6_16DefaultPtrTraitsEiEENS_6detail16IndexBoundsCheckILm5EiEESD_Lm5ESE_iEENS8_INS9_ISB_SC_Lm4ESE_iEESI_SC_Lm5ESE_iEESJ_iiiiiiiii.uses_flat_scratch, 0
	.set _ZN2at6native12_GLOBAL__N_143conv_depthwise3d_cuda_backward_input_kernelIN3c108BFloat16EfLi3ELi3ELi3ELin1ELin1ELin1ELin1ELin1ELin1EEEvN5torch10headeronly6detail27GenericPackedTensorAccessorINS7_14TensorAccessorINS3_8ArrayRefIlEEKT_Lm4ENS6_16DefaultPtrTraitsEiEENS_6detail16IndexBoundsCheckILm5EiEESD_Lm5ESE_iEENS8_INS9_ISB_SC_Lm4ESE_iEESI_SC_Lm5ESE_iEESJ_iiiiiiiii.has_dyn_sized_stack, 0
	.set _ZN2at6native12_GLOBAL__N_143conv_depthwise3d_cuda_backward_input_kernelIN3c108BFloat16EfLi3ELi3ELi3ELin1ELin1ELin1ELin1ELin1ELin1EEEvN5torch10headeronly6detail27GenericPackedTensorAccessorINS7_14TensorAccessorINS3_8ArrayRefIlEEKT_Lm4ENS6_16DefaultPtrTraitsEiEENS_6detail16IndexBoundsCheckILm5EiEESD_Lm5ESE_iEENS8_INS9_ISB_SC_Lm4ESE_iEESI_SC_Lm5ESE_iEESJ_iiiiiiiii.has_recursion, 0
	.set _ZN2at6native12_GLOBAL__N_143conv_depthwise3d_cuda_backward_input_kernelIN3c108BFloat16EfLi3ELi3ELi3ELin1ELin1ELin1ELin1ELin1ELin1EEEvN5torch10headeronly6detail27GenericPackedTensorAccessorINS7_14TensorAccessorINS3_8ArrayRefIlEEKT_Lm4ENS6_16DefaultPtrTraitsEiEENS_6detail16IndexBoundsCheckILm5EiEESD_Lm5ESE_iEENS8_INS9_ISB_SC_Lm4ESE_iEESI_SC_Lm5ESE_iEESJ_iiiiiiiii.has_indirect_call, 0
	.section	.AMDGPU.csdata,"",@progbits
; Kernel info:
; codeLenInByte = 7440
; TotalNumSgprs: 107
; NumVgprs: 126
; ScratchSize: 0
; MemoryBound: 0
; FloatMode: 240
; IeeeMode: 1
; LDSByteSize: 0 bytes/workgroup (compile time only)
; SGPRBlocks: 0
; VGPRBlocks: 15
; NumSGPRsForWavesPerEU: 107
; NumVGPRsForWavesPerEU: 126
; Occupancy: 10
; WaveLimiterHint : 0
; COMPUTE_PGM_RSRC2:SCRATCH_EN: 0
; COMPUTE_PGM_RSRC2:USER_SGPR: 2
; COMPUTE_PGM_RSRC2:TRAP_HANDLER: 0
; COMPUTE_PGM_RSRC2:TGID_X_EN: 1
; COMPUTE_PGM_RSRC2:TGID_Y_EN: 0
; COMPUTE_PGM_RSRC2:TGID_Z_EN: 0
; COMPUTE_PGM_RSRC2:TIDIG_COMP_CNT: 0
	.section	.text._ZN2at6native12_GLOBAL__N_143conv_depthwise3d_cuda_backward_input_kernelIN3c108BFloat16EfLin1ELin1ELin1ELin1ELin1ELin1ELin1ELin1ELin1EEEvN5torch10headeronly6detail27GenericPackedTensorAccessorINS7_14TensorAccessorINS3_8ArrayRefIlEEKT_Lm4ENS6_16DefaultPtrTraitsEiEENS_6detail16IndexBoundsCheckILm5EiEESD_Lm5ESE_iEENS8_INS9_ISB_SC_Lm4ESE_iEESI_SC_Lm5ESE_iEESJ_iiiiiiiii,"axG",@progbits,_ZN2at6native12_GLOBAL__N_143conv_depthwise3d_cuda_backward_input_kernelIN3c108BFloat16EfLin1ELin1ELin1ELin1ELin1ELin1ELin1ELin1ELin1EEEvN5torch10headeronly6detail27GenericPackedTensorAccessorINS7_14TensorAccessorINS3_8ArrayRefIlEEKT_Lm4ENS6_16DefaultPtrTraitsEiEENS_6detail16IndexBoundsCheckILm5EiEESD_Lm5ESE_iEENS8_INS9_ISB_SC_Lm4ESE_iEESI_SC_Lm5ESE_iEESJ_iiiiiiiii,comdat
	.globl	_ZN2at6native12_GLOBAL__N_143conv_depthwise3d_cuda_backward_input_kernelIN3c108BFloat16EfLin1ELin1ELin1ELin1ELin1ELin1ELin1ELin1ELin1EEEvN5torch10headeronly6detail27GenericPackedTensorAccessorINS7_14TensorAccessorINS3_8ArrayRefIlEEKT_Lm4ENS6_16DefaultPtrTraitsEiEENS_6detail16IndexBoundsCheckILm5EiEESD_Lm5ESE_iEENS8_INS9_ISB_SC_Lm4ESE_iEESI_SC_Lm5ESE_iEESJ_iiiiiiiii ; -- Begin function _ZN2at6native12_GLOBAL__N_143conv_depthwise3d_cuda_backward_input_kernelIN3c108BFloat16EfLin1ELin1ELin1ELin1ELin1ELin1ELin1ELin1ELin1EEEvN5torch10headeronly6detail27GenericPackedTensorAccessorINS7_14TensorAccessorINS3_8ArrayRefIlEEKT_Lm4ENS6_16DefaultPtrTraitsEiEENS_6detail16IndexBoundsCheckILm5EiEESD_Lm5ESE_iEENS8_INS9_ISB_SC_Lm4ESE_iEESI_SC_Lm5ESE_iEESJ_iiiiiiiii
	.p2align	8
	.type	_ZN2at6native12_GLOBAL__N_143conv_depthwise3d_cuda_backward_input_kernelIN3c108BFloat16EfLin1ELin1ELin1ELin1ELin1ELin1ELin1ELin1ELin1EEEvN5torch10headeronly6detail27GenericPackedTensorAccessorINS7_14TensorAccessorINS3_8ArrayRefIlEEKT_Lm4ENS6_16DefaultPtrTraitsEiEENS_6detail16IndexBoundsCheckILm5EiEESD_Lm5ESE_iEENS8_INS9_ISB_SC_Lm4ESE_iEESI_SC_Lm5ESE_iEESJ_iiiiiiiii,@function
_ZN2at6native12_GLOBAL__N_143conv_depthwise3d_cuda_backward_input_kernelIN3c108BFloat16EfLin1ELin1ELin1ELin1ELin1ELin1ELin1ELin1ELin1EEEvN5torch10headeronly6detail27GenericPackedTensorAccessorINS7_14TensorAccessorINS3_8ArrayRefIlEEKT_Lm4ENS6_16DefaultPtrTraitsEiEENS_6detail16IndexBoundsCheckILm5EiEESD_Lm5ESE_iEENS8_INS9_ISB_SC_Lm4ESE_iEESI_SC_Lm5ESE_iEESJ_iiiiiiiii: ; @_ZN2at6native12_GLOBAL__N_143conv_depthwise3d_cuda_backward_input_kernelIN3c108BFloat16EfLin1ELin1ELin1ELin1ELin1ELin1ELin1ELin1ELin1EEEvN5torch10headeronly6detail27GenericPackedTensorAccessorINS7_14TensorAccessorINS3_8ArrayRefIlEEKT_Lm4ENS6_16DefaultPtrTraitsEiEENS_6detail16IndexBoundsCheckILm5EiEESD_Lm5ESE_iEENS8_INS9_ISB_SC_Lm4ESE_iEESI_SC_Lm5ESE_iEESJ_iiiiiiiii
; %bb.0:
	s_clause 0x2
	s_load_b128 s[16:19], s[0:1], 0x38
	s_load_b32 s2, s[0:1], 0xc4
	s_load_b64 s[6:7], s[0:1], 0x48
	v_mov_b32_e32 v1, 0
	s_mov_b32 s4, exec_lo
	s_wait_kmcnt 0x0
	s_abs_i32 s33, s17
	s_and_b32 s2, s2, 0xffff
	s_cvt_f32_u32 s3, s33
	v_mad_co_u64_u32 v[0:1], null, s2, ttmp9, v[0:1]
	s_mul_i32 s34, s7, s16
	s_delay_alu instid0(SALU_CYCLE_1) | instskip(SKIP_1) | instid1(TRANS32_DEP_1)
	v_rcp_iflag_f32_e32 v2, s3
	s_ashr_i32 s35, s34, 31
	v_readfirstlane_b32 s3, v2
	v_cmpx_gt_i64_e64 s[34:35], v[0:1]
	s_cbranch_execz .LBB31_19
; %bb.1:
	s_clause 0x1
	s_load_b128 s[20:23], s[0:1], 0xc
	s_load_b64 s[38:39], s[0:1], 0x0
	s_mul_f32 s3, s3, 0x4f7ffffe
	s_sub_co_i32 s63, 0, s33
	s_mov_b32 s37, 0
	s_load_b128 s[24:27], s[0:1], 0x70
	s_cvt_u32_f32 s3, s3
	s_mov_b32 s5, s37
	s_ashr_i32 s16, s17, 31
	s_add_nc_u64 s[8:9], s[0:1], 0xb8
	s_wait_alu 0xfffe
	s_mul_i32 s4, s63, s3
	s_load_b32 s49, s[8:9], 0x0
	s_mul_hi_u32 s4, s3, s4
	s_clause 0x1
	s_load_b64 s[40:41], s[0:1], 0x1c
	s_load_b64 s[42:43], s[0:1], 0x30
	s_add_co_i32 s4, s3, s4
	s_clause 0x1
	s_load_b64 s[44:45], s[0:1], 0x60
	s_load_b128 s[28:31], s[0:1], 0x50
	s_wait_kmcnt 0x0
	s_abs_i32 s36, s20
	s_ashr_i32 s3, s20, 31
	s_mul_u64 s[4:5], s[36:37], s[4:5]
	s_wait_alu 0xfffe
	s_xor_b32 s3, s3, s16
	s_mul_i32 s4, s5, s33
	s_add_co_i32 s10, s5, 1
	s_sub_co_i32 s4, s36, s4
	s_delay_alu instid0(SALU_CYCLE_1)
	s_sub_co_i32 s11, s4, s33
	s_cmp_ge_u32 s4, s33
	s_mul_i32 s49, s49, s2
	s_cselect_b32 s5, s10, s5
	s_cselect_b32 s4, s11, s4
	s_add_co_i32 s20, s5, 1
	s_cmp_ge_u32 s4, s33
	s_load_b256 s[8:15], s[0:1], 0x90
	s_cselect_b32 s4, s20, s5
	s_load_b32 s20, s[0:1], 0xb0
	s_xor_b32 s4, s4, s3
	s_delay_alu instid0(SALU_CYCLE_1)
	s_sub_co_i32 s36, s4, s3
	s_cmp_gt_i32 s24, 0
	v_readfirstlane_b32 s3, v2
	s_cselect_b32 s46, -1, 0
	s_cmp_gt_i32 s25, 0
	s_cselect_b32 s47, -1, 0
	s_cmp_gt_i32 s26, 0
	s_mul_f32 s0, s3, 0x4f7ffffe
	s_cselect_b32 s48, -1, 0
	s_cmp_gt_i32 s36, 0
	s_cselect_b32 s50, -1, 0
	s_abs_i32 s52, s6
	s_abs_i32 s55, s18
	s_cvt_f32_u32 s1, s52
	s_cvt_f32_u32 s3, s55
	s_abs_i32 s54, s19
	s_wait_kmcnt 0x0
	s_abs_i32 s57, s8
	s_wait_alu 0xfffe
	v_rcp_iflag_f32_e32 v2, s1
	s_cvt_f32_u32 s2, s54
	v_rcp_iflag_f32_e32 v4, s3
	s_cvt_f32_u32 s1, s57
	s_abs_i32 s58, s9
	s_wait_alu 0xfffe
	v_rcp_iflag_f32_e32 v3, s2
	s_sub_co_i32 s2, 0, s52
	v_rcp_iflag_f32_e32 v5, s1
	s_cvt_f32_u32 s61, s58
	s_abs_i32 s59, s10
	v_readfirstlane_b32 s1, v2
	s_sub_co_i32 s60, 0, s55
	v_readfirstlane_b32 s5, v4
	v_rcp_iflag_f32_e32 v2, s61
	s_sub_co_i32 s3, 0, s54
	s_mul_f32 s1, s1, 0x4f7ffffe
	v_readfirstlane_b32 s4, v3
	s_mul_f32 s5, s5, 0x4f7ffffe
	v_readfirstlane_b32 s62, v5
	s_wait_alu 0xfffe
	s_cvt_u32_f32 s1, s1
	s_cvt_u32_f32 s0, s0
	s_mul_f32 s4, s4, 0x4f7ffffe
	s_cvt_u32_f32 s5, s5
	s_wait_alu 0xfffe
	s_mul_i32 s2, s2, s1
	s_mul_i32 s63, s63, s0
	s_wait_alu 0xfffe
	s_mul_hi_u32 s2, s1, s2
	s_cvt_u32_f32 s4, s4
	s_mul_i32 s64, s60, s5
	s_wait_alu 0xfffe
	s_add_co_i32 s60, s1, s2
	s_cvt_f32_u32 s1, s59
	s_mul_i32 s3, s3, s4
	s_mul_hi_u32 s2, s5, s64
	s_wait_alu 0xfffe
	s_mul_hi_u32 s3, s4, s3
	v_rcp_iflag_f32_e32 v3, s1
	s_wait_alu 0xfffe
	s_add_co_i32 s61, s4, s3
	s_mul_f32 s3, s62, 0x4f7ffffe
	s_add_co_i32 s62, s5, s2
	v_readfirstlane_b32 s2, v2
	s_sub_co_i32 s4, 0, s57
	s_wait_alu 0xfffe
	s_cvt_u32_f32 s1, s3
	s_mul_hi_u32 s3, s0, s63
	s_ashr_i32 s51, s6, 31
	s_wait_alu 0xfffe
	s_add_co_i32 s63, s0, s3
	s_mul_f32 s0, s2, 0x4f7ffffe
	v_readfirstlane_b32 s2, v3
	s_mul_i32 s4, s4, s1
	s_ashr_i32 s53, s19, 31
	s_mul_hi_u32 s3, s1, s4
	s_wait_alu 0xfffe
	s_cvt_u32_f32 s0, s0
	s_add_co_i32 s65, s1, s3
	s_mul_f32 s1, s2, 0x4f7ffffe
	s_sub_co_i32 s2, 0, s58
	s_sub_co_i32 s3, 0, s59
	s_wait_alu 0xfffe
	s_mul_i32 s2, s2, s0
	s_cvt_u32_f32 s1, s1
	s_wait_alu 0xfffe
	s_mul_hi_u32 s2, s0, s2
	s_ashr_i32 s56, s18, 31
	s_wait_alu 0xfffe
	s_add_co_i32 s67, s0, s2
	s_mul_i32 s3, s3, s1
	s_ashr_i32 s64, s8, 31
	s_wait_alu 0xfffe
	s_mul_hi_u32 s0, s1, s3
	s_ashr_i32 s66, s9, 31
	s_ashr_i32 s68, s10, 31
	s_wait_alu 0xfffe
	s_add_co_i32 s69, s1, s0
	s_branch .LBB31_4
.LBB31_2:                               ;   in Loop: Header=BB31_4 Depth=1
	s_or_b32 exec_lo, exec_lo, s70
.LBB31_3:                               ;   in Loop: Header=BB31_4 Depth=1
	v_mul_lo_u32 v2, v7, s7
	v_mul_lo_u32 v9, s28, v9
	;; [unrolled: 1-line block ×3, first 2 shown]
	v_bfe_u32 v7, v8, 16, 1
	v_mul_lo_u32 v11, s30, v5
	v_mul_lo_u32 v4, s31, v4
	s_delay_alu instid0(VALU_DEP_3)
	v_add3_u32 v13, v8, v7, 0x7fff
	v_ashrrev_i32_e32 v3, 31, v2
	v_ashrrev_i32_e32 v10, 31, v9
	v_ashrrev_i32_e32 v7, 31, v6
	v_ashrrev_i32_e32 v12, 31, v11
	v_lshrrev_b32_e32 v13, 16, v13
	v_lshlrev_b64_e32 v[2:3], 1, v[2:3]
	v_lshlrev_b64_e32 v[9:10], 1, v[9:10]
	v_ashrrev_i32_e32 v5, 31, v4
	s_delay_alu instid0(VALU_DEP_3) | instskip(SKIP_1) | instid1(VALU_DEP_4)
	v_add_co_u32 v14, vcc_lo, s42, v2
	s_wait_alu 0xfffd
	v_add_co_ci_u32_e64 v15, null, s43, v3, vcc_lo
	v_lshlrev_b64_e32 v[2:3], 1, v[6:7]
	s_delay_alu instid0(VALU_DEP_3) | instskip(SKIP_1) | instid1(VALU_DEP_3)
	v_add_co_u32 v6, vcc_lo, v14, v9
	s_wait_alu 0xfffd
	v_add_co_ci_u32_e64 v7, null, v15, v10, vcc_lo
	v_cmp_o_f32_e32 vcc_lo, v8, v8
	v_lshlrev_b64_e32 v[4:5], 1, v[4:5]
	s_wait_alu 0xfffd
	v_cndmask_b32_e32 v8, 0x7fc0, v13, vcc_lo
	v_add_co_u32 v6, vcc_lo, v6, v2
	s_wait_alu 0xfffd
	v_add_co_ci_u32_e64 v7, null, v7, v3, vcc_lo
	v_lshlrev_b64_e32 v[2:3], 1, v[11:12]
	v_add_co_u32 v0, vcc_lo, v0, s49
	s_wait_alu 0xfffd
	v_add_co_ci_u32_e64 v1, null, 0, v1, vcc_lo
	s_delay_alu instid0(VALU_DEP_3) | instskip(SKIP_2) | instid1(VALU_DEP_3)
	v_add_co_u32 v2, vcc_lo, v6, v2
	s_wait_alu 0xfffd
	v_add_co_ci_u32_e64 v3, null, v7, v3, vcc_lo
	v_cmp_le_i64_e32 vcc_lo, s[34:35], v[0:1]
	s_delay_alu instid0(VALU_DEP_3) | instskip(SKIP_1) | instid1(VALU_DEP_3)
	v_add_co_u32 v2, s0, v2, v4
	s_wait_alu 0xf1ff
	v_add_co_ci_u32_e64 v3, null, v3, v5, s0
	s_or_b32 s37, vcc_lo, s37
	global_store_b16 v[2:3], v8, off
	s_wait_alu 0xfffe
	s_and_not1_b32 exec_lo, exec_lo, s37
	s_cbranch_execz .LBB31_19
.LBB31_4:                               ; =>This Loop Header: Depth=1
                                        ;     Child Loop BB31_7 Depth 2
                                        ;       Child Loop BB31_10 Depth 3
                                        ;         Child Loop BB31_13 Depth 4
                                        ;           Child Loop BB31_16 Depth 5
	v_sub_nc_u32_e32 v2, 0, v0
	s_delay_alu instid0(VALU_DEP_1) | instskip(NEXT) | instid1(VALU_DEP_1)
	v_max_i32_e32 v2, v0, v2
	v_mul_hi_u32 v3, v2, s60
	s_delay_alu instid0(VALU_DEP_1) | instskip(NEXT) | instid1(VALU_DEP_1)
	v_mul_lo_u32 v4, v3, s52
	v_sub_nc_u32_e32 v2, v2, v4
	v_add_nc_u32_e32 v4, 1, v3
	s_delay_alu instid0(VALU_DEP_2) | instskip(SKIP_2) | instid1(VALU_DEP_2)
	v_subrev_nc_u32_e32 v5, s52, v2
	v_cmp_le_u32_e32 vcc_lo, s52, v2
	s_wait_alu 0xfffd
	v_dual_cndmask_b32 v3, v3, v4 :: v_dual_cndmask_b32 v2, v2, v5
	v_ashrrev_i32_e32 v4, 31, v0
	s_delay_alu instid0(VALU_DEP_2) | instskip(NEXT) | instid1(VALU_DEP_3)
	v_add_nc_u32_e32 v5, 1, v3
	v_cmp_le_u32_e32 vcc_lo, s52, v2
	s_delay_alu instid0(VALU_DEP_3) | instskip(SKIP_1) | instid1(VALU_DEP_3)
	v_xor_b32_e32 v4, s51, v4
	s_wait_alu 0xfffd
	v_cndmask_b32_e32 v2, v3, v5, vcc_lo
	s_delay_alu instid0(VALU_DEP_1) | instskip(NEXT) | instid1(VALU_DEP_1)
	v_xor_b32_e32 v2, v2, v4
	v_sub_nc_u32_e32 v2, v2, v4
	s_delay_alu instid0(VALU_DEP_1) | instskip(NEXT) | instid1(VALU_DEP_1)
	v_sub_nc_u32_e32 v3, 0, v2
	v_max_i32_e32 v3, v2, v3
	s_delay_alu instid0(VALU_DEP_1) | instskip(NEXT) | instid1(VALU_DEP_1)
	v_mul_hi_u32 v4, v3, s61
	v_mul_lo_u32 v5, v4, s54
	s_delay_alu instid0(VALU_DEP_1) | instskip(SKIP_1) | instid1(VALU_DEP_2)
	v_sub_nc_u32_e32 v3, v3, v5
	v_add_nc_u32_e32 v5, 1, v4
	v_subrev_nc_u32_e32 v6, s54, v3
	v_cmp_le_u32_e32 vcc_lo, s54, v3
	s_wait_alu 0xfffd
	s_delay_alu instid0(VALU_DEP_2) | instskip(SKIP_1) | instid1(VALU_DEP_2)
	v_dual_cndmask_b32 v4, v4, v5 :: v_dual_cndmask_b32 v3, v3, v6
	v_ashrrev_i32_e32 v5, 31, v2
	v_add_nc_u32_e32 v6, 1, v4
	s_delay_alu instid0(VALU_DEP_3) | instskip(NEXT) | instid1(VALU_DEP_3)
	v_cmp_le_u32_e32 vcc_lo, s54, v3
	v_xor_b32_e32 v5, s53, v5
	s_wait_alu 0xfffd
	s_delay_alu instid0(VALU_DEP_3) | instskip(NEXT) | instid1(VALU_DEP_1)
	v_cndmask_b32_e32 v3, v4, v6, vcc_lo
	v_xor_b32_e32 v3, v3, v5
	s_delay_alu instid0(VALU_DEP_1) | instskip(NEXT) | instid1(VALU_DEP_1)
	v_sub_nc_u32_e32 v3, v3, v5
	v_sub_nc_u32_e32 v4, 0, v3
	s_delay_alu instid0(VALU_DEP_1) | instskip(NEXT) | instid1(VALU_DEP_1)
	v_max_i32_e32 v4, v3, v4
	v_mul_hi_u32 v5, v4, s62
	s_delay_alu instid0(VALU_DEP_1) | instskip(NEXT) | instid1(VALU_DEP_1)
	v_mul_lo_u32 v6, v5, s55
	v_sub_nc_u32_e32 v4, v4, v6
	v_add_nc_u32_e32 v6, 1, v5
	s_delay_alu instid0(VALU_DEP_2) | instskip(SKIP_2) | instid1(VALU_DEP_2)
	v_subrev_nc_u32_e32 v7, s55, v4
	v_cmp_le_u32_e32 vcc_lo, s55, v4
	s_wait_alu 0xfffd
	v_dual_cndmask_b32 v5, v5, v6 :: v_dual_cndmask_b32 v4, v4, v7
	v_ashrrev_i32_e32 v6, 31, v3
	s_delay_alu instid0(VALU_DEP_2) | instskip(NEXT) | instid1(VALU_DEP_3)
	v_add_nc_u32_e32 v7, 1, v5
	v_cmp_le_u32_e32 vcc_lo, s55, v4
	s_delay_alu instid0(VALU_DEP_3) | instskip(SKIP_1) | instid1(VALU_DEP_3)
	v_xor_b32_e32 v6, s56, v6
	s_wait_alu 0xfffd
	v_cndmask_b32_e32 v4, v5, v7, vcc_lo
	s_delay_alu instid0(VALU_DEP_1) | instskip(NEXT) | instid1(VALU_DEP_1)
	v_xor_b32_e32 v4, v4, v6
	v_sub_nc_u32_e32 v8, v4, v6
	s_delay_alu instid0(VALU_DEP_1) | instskip(NEXT) | instid1(VALU_DEP_1)
	v_sub_nc_u32_e32 v4, 0, v8
	v_max_i32_e32 v4, v8, v4
	s_delay_alu instid0(VALU_DEP_1) | instskip(NEXT) | instid1(VALU_DEP_1)
	v_mul_hi_u32 v5, v4, s63
	v_mul_lo_u32 v6, v5, s33
	s_delay_alu instid0(VALU_DEP_1) | instskip(SKIP_1) | instid1(VALU_DEP_2)
	v_sub_nc_u32_e32 v4, v4, v6
	v_add_nc_u32_e32 v6, 1, v5
	v_subrev_nc_u32_e32 v7, s33, v4
	v_cmp_le_u32_e32 vcc_lo, s33, v4
	s_wait_alu 0xfffd
	s_delay_alu instid0(VALU_DEP_2) | instskip(SKIP_1) | instid1(VALU_DEP_2)
	v_dual_cndmask_b32 v5, v5, v6 :: v_dual_cndmask_b32 v4, v4, v7
	v_ashrrev_i32_e32 v6, 31, v8
	v_add_nc_u32_e32 v7, 1, v5
	s_delay_alu instid0(VALU_DEP_3) | instskip(NEXT) | instid1(VALU_DEP_3)
	v_cmp_le_u32_e32 vcc_lo, s33, v4
	v_xor_b32_e32 v6, s16, v6
	s_wait_alu 0xfffd
	s_delay_alu instid0(VALU_DEP_3) | instskip(SKIP_2) | instid1(VALU_DEP_2)
	v_cndmask_b32_e32 v4, v5, v7, vcc_lo
	v_mul_lo_u32 v5, v3, s19
	s_and_not1_b32 vcc_lo, exec_lo, s50
	v_xor_b32_e32 v4, v4, v6
	s_delay_alu instid0(VALU_DEP_2) | instskip(NEXT) | instid1(VALU_DEP_2)
	v_sub_nc_u32_e32 v5, v2, v5
	v_sub_nc_u32_e32 v7, v4, v6
	v_mul_lo_u32 v4, v2, s6
	v_mul_lo_u32 v6, v8, s18
	s_delay_alu instid0(VALU_DEP_3) | instskip(NEXT) | instid1(VALU_DEP_3)
	v_mul_lo_u32 v9, v7, s17
	v_sub_nc_u32_e32 v4, v0, v4
	s_delay_alu instid0(VALU_DEP_3) | instskip(NEXT) | instid1(VALU_DEP_3)
	v_sub_nc_u32_e32 v6, v3, v6
	v_sub_nc_u32_e32 v9, v8, v9
	s_wait_alu 0xfffe
	s_cbranch_vccnz .LBB31_18
; %bb.5:                                ;   in Loop: Header=BB31_4 Depth=1
	s_delay_alu instid0(VALU_DEP_1)
	v_mul_lo_u32 v10, v9, s36
	v_mul_lo_u32 v2, s40, v7
	v_dual_mov_b32 v8, 0 :: v_dual_add_nc_u32 v11, s13, v4
	v_add_nc_u32_e32 v12, s12, v5
	v_add_nc_u32_e32 v13, s11, v6
	s_mov_b32 s70, 0
	v_mul_lo_u32 v15, s27, v10
	v_ashrrev_i32_e32 v3, 31, v2
	v_add_nc_u32_e32 v14, s36, v10
	s_delay_alu instid0(VALU_DEP_2) | instskip(NEXT) | instid1(VALU_DEP_4)
	v_lshlrev_b64_e32 v[2:3], 1, v[2:3]
	v_ashrrev_i32_e32 v16, 31, v15
	s_delay_alu instid0(VALU_DEP_1) | instskip(NEXT) | instid1(VALU_DEP_3)
	v_lshlrev_b64_e32 v[17:18], 1, v[15:16]
	v_add_co_u32 v15, vcc_lo, s38, v2
	s_wait_alu 0xfffd
	s_delay_alu instid0(VALU_DEP_4) | instskip(NEXT) | instid1(VALU_DEP_3)
	v_add_co_ci_u32_e64 v16, null, s39, v3, vcc_lo
	v_add_co_u32 v2, vcc_lo, s44, v17
	s_wait_alu 0xfffd
	v_add_co_ci_u32_e64 v3, null, s45, v18, vcc_lo
	s_branch .LBB31_7
.LBB31_6:                               ;   in Loop: Header=BB31_7 Depth=2
	v_add_nc_u32_e32 v10, 1, v10
	s_delay_alu instid0(VALU_DEP_1) | instskip(SKIP_1) | instid1(SALU_CYCLE_1)
	v_cmp_ge_i32_e32 vcc_lo, v10, v14
	s_or_b32 s70, vcc_lo, s70
	s_and_not1_b32 exec_lo, exec_lo, s70
	s_cbranch_execz .LBB31_2
.LBB31_7:                               ;   Parent Loop BB31_4 Depth=1
                                        ; =>  This Loop Header: Depth=2
                                        ;       Child Loop BB31_10 Depth 3
                                        ;         Child Loop BB31_13 Depth 4
                                        ;           Child Loop BB31_16 Depth 5
	s_and_not1_b32 vcc_lo, exec_lo, s46
	s_wait_alu 0xfffe
	s_cbranch_vccnz .LBB31_6
; %bb.8:                                ;   in Loop: Header=BB31_7 Depth=2
	v_mul_lo_u32 v17, s41, v10
	s_mov_b32 s71, 0
	s_delay_alu instid0(VALU_DEP_1) | instskip(NEXT) | instid1(VALU_DEP_1)
	v_ashrrev_i32_e32 v18, 31, v17
	v_lshlrev_b64_e32 v[17:18], 1, v[17:18]
	s_delay_alu instid0(VALU_DEP_1) | instskip(SKIP_1) | instid1(VALU_DEP_2)
	v_add_co_u32 v17, vcc_lo, v15, v17
	s_wait_alu 0xfffd
	v_add_co_ci_u32_e64 v18, null, v16, v18, vcc_lo
	s_branch .LBB31_10
.LBB31_9:                               ;   in Loop: Header=BB31_10 Depth=3
	s_add_co_i32 s71, s71, 1
	s_delay_alu instid0(SALU_CYCLE_1)
	s_cmp_eq_u32 s71, s24
	s_cbranch_scc1 .LBB31_6
.LBB31_10:                              ;   Parent Loop BB31_4 Depth=1
                                        ;     Parent Loop BB31_7 Depth=2
                                        ; =>    This Loop Header: Depth=3
                                        ;         Child Loop BB31_13 Depth 4
                                        ;           Child Loop BB31_16 Depth 5
	s_and_not1_b32 vcc_lo, exec_lo, s47
	s_wait_alu 0xfffe
	s_cbranch_vccnz .LBB31_9
; %bb.11:                               ;   in Loop: Header=BB31_10 Depth=3
	s_mul_i32 s0, s14, s71
	s_mov_b32 s72, 0
	s_wait_alu 0xfffe
	v_subrev_nc_u32_e32 v20, s0, v13
	s_delay_alu instid0(VALU_DEP_1) | instskip(NEXT) | instid1(VALU_DEP_1)
	v_sub_nc_u32_e32 v19, 0, v20
	v_max_i32_e32 v19, v20, v19
	s_delay_alu instid0(VALU_DEP_1) | instskip(NEXT) | instid1(VALU_DEP_1)
	v_mul_hi_u32 v21, v19, s65
	v_mul_lo_u32 v22, v21, s57
	s_delay_alu instid0(VALU_DEP_1) | instskip(NEXT) | instid1(VALU_DEP_1)
	v_sub_nc_u32_e32 v19, v19, v22
	v_subrev_nc_u32_e32 v23, s57, v19
	v_cmp_le_u32_e32 vcc_lo, s57, v19
	s_wait_alu 0xfffd
	s_delay_alu instid0(VALU_DEP_2) | instskip(NEXT) | instid1(VALU_DEP_1)
	v_dual_cndmask_b32 v19, v19, v23 :: v_dual_add_nc_u32 v22, 1, v21
	v_cndmask_b32_e32 v21, v21, v22, vcc_lo
	v_ashrrev_i32_e32 v22, 31, v20
	s_delay_alu instid0(VALU_DEP_3) | instskip(NEXT) | instid1(VALU_DEP_3)
	v_cmp_le_u32_e32 vcc_lo, s57, v19
	v_add_nc_u32_e32 v23, 1, v21
	s_delay_alu instid0(VALU_DEP_3) | instskip(SKIP_1) | instid1(VALU_DEP_2)
	v_xor_b32_e32 v22, s64, v22
	s_wait_alu 0xfffd
	v_cndmask_b32_e32 v19, v21, v23, vcc_lo
	s_delay_alu instid0(VALU_DEP_1) | instskip(NEXT) | instid1(VALU_DEP_1)
	v_xor_b32_e32 v19, v19, v22
	v_sub_nc_u32_e32 v21, v19, v22
	s_delay_alu instid0(VALU_DEP_1) | instskip(SKIP_3) | instid1(VALU_DEP_4)
	v_mul_lo_u32 v22, v21, s8
	v_mul_lo_u32 v19, v21, s22
	v_cmp_lt_i32_e64 s0, -1, v21
	v_cmp_gt_i32_e64 s1, s21, v21
	v_cmp_eq_u32_e64 s2, v22, v20
	s_branch .LBB31_13
.LBB31_12:                              ;   in Loop: Header=BB31_13 Depth=4
	s_add_co_i32 s72, s72, 1
	s_delay_alu instid0(SALU_CYCLE_1)
	s_cmp_eq_u32 s72, s25
	s_cbranch_scc1 .LBB31_9
.LBB31_13:                              ;   Parent Loop BB31_4 Depth=1
                                        ;     Parent Loop BB31_7 Depth=2
                                        ;       Parent Loop BB31_10 Depth=3
                                        ; =>      This Loop Header: Depth=4
                                        ;           Child Loop BB31_16 Depth 5
	s_and_not1_b32 vcc_lo, exec_lo, s48
	s_wait_alu 0xfffe
	s_cbranch_vccnz .LBB31_12
; %bb.14:                               ;   in Loop: Header=BB31_13 Depth=4
	s_mul_i32 s3, s15, s72
	s_mov_b32 s74, s26
	s_wait_alu 0xfffe
	v_subrev_nc_u32_e32 v21, s3, v12
	s_delay_alu instid0(VALU_DEP_1) | instskip(NEXT) | instid1(VALU_DEP_1)
	v_sub_nc_u32_e32 v20, 0, v21
	v_max_i32_e32 v20, v21, v20
	s_delay_alu instid0(VALU_DEP_1) | instskip(NEXT) | instid1(VALU_DEP_1)
	v_mul_hi_u32 v22, v20, s67
	v_mul_lo_u32 v23, v22, s58
	s_delay_alu instid0(VALU_DEP_1) | instskip(NEXT) | instid1(VALU_DEP_1)
	v_sub_nc_u32_e32 v20, v20, v23
	v_subrev_nc_u32_e32 v24, s58, v20
	v_cmp_le_u32_e32 vcc_lo, s58, v20
	s_wait_alu 0xfffd
	s_delay_alu instid0(VALU_DEP_2) | instskip(NEXT) | instid1(VALU_DEP_1)
	v_dual_cndmask_b32 v20, v20, v24 :: v_dual_add_nc_u32 v23, 1, v22
	v_cndmask_b32_e32 v22, v22, v23, vcc_lo
	v_ashrrev_i32_e32 v23, 31, v21
	s_delay_alu instid0(VALU_DEP_3) | instskip(NEXT) | instid1(VALU_DEP_3)
	v_cmp_le_u32_e32 vcc_lo, s58, v20
	v_add_nc_u32_e32 v24, 1, v22
	s_delay_alu instid0(VALU_DEP_3) | instskip(SKIP_1) | instid1(VALU_DEP_2)
	v_xor_b32_e32 v23, s66, v23
	s_wait_alu 0xfffd
	v_cndmask_b32_e32 v20, v22, v24, vcc_lo
	s_delay_alu instid0(VALU_DEP_1) | instskip(NEXT) | instid1(VALU_DEP_1)
	v_xor_b32_e32 v20, v20, v23
	v_sub_nc_u32_e32 v22, v20, v23
	s_delay_alu instid0(VALU_DEP_1) | instskip(SKIP_3) | instid1(VALU_DEP_3)
	v_mul_lo_u32 v23, v22, s9
	v_add_nc_u32_e32 v20, v22, v19
	v_cmp_gt_i32_e64 s3, s22, v22
	v_cmp_lt_i32_e32 vcc_lo, -1, v22
	v_mul_lo_u32 v20, v20, s23
	v_cmp_eq_u32_e64 s4, v23, v21
	v_mov_b32_e32 v21, v11
	s_and_b32 s73, s2, s4
	s_branch .LBB31_16
.LBB31_15:                              ;   in Loop: Header=BB31_16 Depth=5
	s_wait_alu 0xfffe
	s_or_b32 exec_lo, exec_lo, s5
	v_mul_lo_u32 v23, v23, s10
	s_wait_loadcnt 0x0
	v_lshlrev_b32_e32 v22, 16, v22
	v_add_co_u32 v2, s5, v2, 2
	s_wait_alu 0xf1ff
	v_add_co_ci_u32_e64 v3, null, 0, v3, s5
	s_delay_alu instid0(VALU_DEP_3)
	v_fma_f32 v22, v24, v22, v8
	s_add_co_i32 s74, s74, -1
	v_cmp_eq_u32_e64 s4, v21, v23
	v_subrev_nc_u32_e32 v21, s20, v21
	s_and_b32 s4, s73, s4
	s_cmp_eq_u32 s74, 0
	s_wait_alu 0xfffe
	v_cndmask_b32_e64 v8, v8, v22, s4
	s_cbranch_scc1 .LBB31_12
.LBB31_16:                              ;   Parent Loop BB31_4 Depth=1
                                        ;     Parent Loop BB31_7 Depth=2
                                        ;       Parent Loop BB31_10 Depth=3
                                        ;         Parent Loop BB31_13 Depth=4
                                        ; =>        This Inner Loop Header: Depth=5
	global_load_u16 v22, v[2:3], off
	v_sub_nc_u32_e32 v23, 0, v21
	s_delay_alu instid0(VALU_DEP_1) | instskip(NEXT) | instid1(VALU_DEP_1)
	v_max_i32_e32 v23, v21, v23
	v_mul_hi_u32 v24, v23, s69
	s_delay_alu instid0(VALU_DEP_1) | instskip(NEXT) | instid1(VALU_DEP_1)
	v_mul_lo_u32 v25, v24, s59
	v_sub_nc_u32_e32 v23, v23, v25
	v_add_nc_u32_e32 v25, 1, v24
	s_delay_alu instid0(VALU_DEP_2) | instskip(SKIP_2) | instid1(VALU_DEP_1)
	v_subrev_nc_u32_e32 v26, s59, v23
	v_cmp_le_u32_e64 s4, s59, v23
	s_wait_alu 0xf1ff
	v_cndmask_b32_e64 v24, v24, v25, s4
	s_delay_alu instid0(VALU_DEP_3) | instskip(SKIP_1) | instid1(VALU_DEP_3)
	v_cndmask_b32_e64 v23, v23, v26, s4
	v_ashrrev_i32_e32 v25, 31, v21
	v_add_nc_u32_e32 v26, 1, v24
	s_delay_alu instid0(VALU_DEP_3) | instskip(NEXT) | instid1(VALU_DEP_3)
	v_cmp_le_u32_e64 s4, s59, v23
	v_xor_b32_e32 v25, s68, v25
	s_wait_alu 0xf1ff
	s_delay_alu instid0(VALU_DEP_2) | instskip(SKIP_1) | instid1(VALU_DEP_2)
	v_cndmask_b32_e64 v23, v24, v26, s4
	v_mov_b32_e32 v24, 0
	v_xor_b32_e32 v23, v23, v25
	s_delay_alu instid0(VALU_DEP_1) | instskip(NEXT) | instid1(VALU_DEP_1)
	v_sub_nc_u32_e32 v23, v23, v25
	v_cmp_lt_i32_e64 s4, -1, v23
	v_cmp_gt_i32_e64 s5, s23, v23
	s_and_b32 s4, s4, vcc_lo
	s_wait_alu 0xfffe
	s_and_b32 s4, s4, s0
	s_wait_alu 0xfffe
	s_and_b32 s4, s5, s4
	;; [unrolled: 2-line block ×4, first 2 shown]
	s_wait_alu 0xfffe
	s_and_saveexec_b32 s5, s4
	s_cbranch_execz .LBB31_15
; %bb.17:                               ;   in Loop: Header=BB31_16 Depth=5
	v_add_nc_u32_e32 v24, v23, v20
	s_delay_alu instid0(VALU_DEP_1) | instskip(NEXT) | instid1(VALU_DEP_1)
	v_ashrrev_i32_e32 v25, 31, v24
	v_lshlrev_b64_e32 v[24:25], 1, v[24:25]
	s_delay_alu instid0(VALU_DEP_1) | instskip(SKIP_1) | instid1(VALU_DEP_2)
	v_add_co_u32 v24, s4, v17, v24
	s_wait_alu 0xf1ff
	v_add_co_ci_u32_e64 v25, null, v18, v25, s4
	global_load_u16 v24, v[24:25], off
	s_wait_loadcnt 0x0
	v_lshlrev_b32_e32 v24, 16, v24
	s_branch .LBB31_15
.LBB31_18:                              ;   in Loop: Header=BB31_4 Depth=1
	v_mov_b32_e32 v8, 0
	s_branch .LBB31_3
.LBB31_19:
	s_endpgm
	.section	.rodata,"a",@progbits
	.p2align	6, 0x0
	.amdhsa_kernel _ZN2at6native12_GLOBAL__N_143conv_depthwise3d_cuda_backward_input_kernelIN3c108BFloat16EfLin1ELin1ELin1ELin1ELin1ELin1ELin1ELin1ELin1EEEvN5torch10headeronly6detail27GenericPackedTensorAccessorINS7_14TensorAccessorINS3_8ArrayRefIlEEKT_Lm4ENS6_16DefaultPtrTraitsEiEENS_6detail16IndexBoundsCheckILm5EiEESD_Lm5ESE_iEENS8_INS9_ISB_SC_Lm4ESE_iEESI_SC_Lm5ESE_iEESJ_iiiiiiiii
		.amdhsa_group_segment_fixed_size 0
		.amdhsa_private_segment_fixed_size 0
		.amdhsa_kernarg_size 440
		.amdhsa_user_sgpr_count 2
		.amdhsa_user_sgpr_dispatch_ptr 0
		.amdhsa_user_sgpr_queue_ptr 0
		.amdhsa_user_sgpr_kernarg_segment_ptr 1
		.amdhsa_user_sgpr_dispatch_id 0
		.amdhsa_user_sgpr_private_segment_size 0
		.amdhsa_wavefront_size32 1
		.amdhsa_uses_dynamic_stack 0
		.amdhsa_enable_private_segment 0
		.amdhsa_system_sgpr_workgroup_id_x 1
		.amdhsa_system_sgpr_workgroup_id_y 0
		.amdhsa_system_sgpr_workgroup_id_z 0
		.amdhsa_system_sgpr_workgroup_info 0
		.amdhsa_system_vgpr_workitem_id 0
		.amdhsa_next_free_vgpr 27
		.amdhsa_next_free_sgpr 75
		.amdhsa_reserve_vcc 1
		.amdhsa_float_round_mode_32 0
		.amdhsa_float_round_mode_16_64 0
		.amdhsa_float_denorm_mode_32 3
		.amdhsa_float_denorm_mode_16_64 3
		.amdhsa_fp16_overflow 0
		.amdhsa_workgroup_processor_mode 1
		.amdhsa_memory_ordered 1
		.amdhsa_forward_progress 1
		.amdhsa_inst_pref_size 20
		.amdhsa_round_robin_scheduling 0
		.amdhsa_exception_fp_ieee_invalid_op 0
		.amdhsa_exception_fp_denorm_src 0
		.amdhsa_exception_fp_ieee_div_zero 0
		.amdhsa_exception_fp_ieee_overflow 0
		.amdhsa_exception_fp_ieee_underflow 0
		.amdhsa_exception_fp_ieee_inexact 0
		.amdhsa_exception_int_div_zero 0
	.end_amdhsa_kernel
	.section	.text._ZN2at6native12_GLOBAL__N_143conv_depthwise3d_cuda_backward_input_kernelIN3c108BFloat16EfLin1ELin1ELin1ELin1ELin1ELin1ELin1ELin1ELin1EEEvN5torch10headeronly6detail27GenericPackedTensorAccessorINS7_14TensorAccessorINS3_8ArrayRefIlEEKT_Lm4ENS6_16DefaultPtrTraitsEiEENS_6detail16IndexBoundsCheckILm5EiEESD_Lm5ESE_iEENS8_INS9_ISB_SC_Lm4ESE_iEESI_SC_Lm5ESE_iEESJ_iiiiiiiii,"axG",@progbits,_ZN2at6native12_GLOBAL__N_143conv_depthwise3d_cuda_backward_input_kernelIN3c108BFloat16EfLin1ELin1ELin1ELin1ELin1ELin1ELin1ELin1ELin1EEEvN5torch10headeronly6detail27GenericPackedTensorAccessorINS7_14TensorAccessorINS3_8ArrayRefIlEEKT_Lm4ENS6_16DefaultPtrTraitsEiEENS_6detail16IndexBoundsCheckILm5EiEESD_Lm5ESE_iEENS8_INS9_ISB_SC_Lm4ESE_iEESI_SC_Lm5ESE_iEESJ_iiiiiiiii,comdat
.Lfunc_end31:
	.size	_ZN2at6native12_GLOBAL__N_143conv_depthwise3d_cuda_backward_input_kernelIN3c108BFloat16EfLin1ELin1ELin1ELin1ELin1ELin1ELin1ELin1ELin1EEEvN5torch10headeronly6detail27GenericPackedTensorAccessorINS7_14TensorAccessorINS3_8ArrayRefIlEEKT_Lm4ENS6_16DefaultPtrTraitsEiEENS_6detail16IndexBoundsCheckILm5EiEESD_Lm5ESE_iEENS8_INS9_ISB_SC_Lm4ESE_iEESI_SC_Lm5ESE_iEESJ_iiiiiiiii, .Lfunc_end31-_ZN2at6native12_GLOBAL__N_143conv_depthwise3d_cuda_backward_input_kernelIN3c108BFloat16EfLin1ELin1ELin1ELin1ELin1ELin1ELin1ELin1ELin1EEEvN5torch10headeronly6detail27GenericPackedTensorAccessorINS7_14TensorAccessorINS3_8ArrayRefIlEEKT_Lm4ENS6_16DefaultPtrTraitsEiEENS_6detail16IndexBoundsCheckILm5EiEESD_Lm5ESE_iEENS8_INS9_ISB_SC_Lm4ESE_iEESI_SC_Lm5ESE_iEESJ_iiiiiiiii
                                        ; -- End function
	.set _ZN2at6native12_GLOBAL__N_143conv_depthwise3d_cuda_backward_input_kernelIN3c108BFloat16EfLin1ELin1ELin1ELin1ELin1ELin1ELin1ELin1ELin1EEEvN5torch10headeronly6detail27GenericPackedTensorAccessorINS7_14TensorAccessorINS3_8ArrayRefIlEEKT_Lm4ENS6_16DefaultPtrTraitsEiEENS_6detail16IndexBoundsCheckILm5EiEESD_Lm5ESE_iEENS8_INS9_ISB_SC_Lm4ESE_iEESI_SC_Lm5ESE_iEESJ_iiiiiiiii.num_vgpr, 27
	.set _ZN2at6native12_GLOBAL__N_143conv_depthwise3d_cuda_backward_input_kernelIN3c108BFloat16EfLin1ELin1ELin1ELin1ELin1ELin1ELin1ELin1ELin1EEEvN5torch10headeronly6detail27GenericPackedTensorAccessorINS7_14TensorAccessorINS3_8ArrayRefIlEEKT_Lm4ENS6_16DefaultPtrTraitsEiEENS_6detail16IndexBoundsCheckILm5EiEESD_Lm5ESE_iEENS8_INS9_ISB_SC_Lm4ESE_iEESI_SC_Lm5ESE_iEESJ_iiiiiiiii.num_agpr, 0
	.set _ZN2at6native12_GLOBAL__N_143conv_depthwise3d_cuda_backward_input_kernelIN3c108BFloat16EfLin1ELin1ELin1ELin1ELin1ELin1ELin1ELin1ELin1EEEvN5torch10headeronly6detail27GenericPackedTensorAccessorINS7_14TensorAccessorINS3_8ArrayRefIlEEKT_Lm4ENS6_16DefaultPtrTraitsEiEENS_6detail16IndexBoundsCheckILm5EiEESD_Lm5ESE_iEENS8_INS9_ISB_SC_Lm4ESE_iEESI_SC_Lm5ESE_iEESJ_iiiiiiiii.numbered_sgpr, 75
	.set _ZN2at6native12_GLOBAL__N_143conv_depthwise3d_cuda_backward_input_kernelIN3c108BFloat16EfLin1ELin1ELin1ELin1ELin1ELin1ELin1ELin1ELin1EEEvN5torch10headeronly6detail27GenericPackedTensorAccessorINS7_14TensorAccessorINS3_8ArrayRefIlEEKT_Lm4ENS6_16DefaultPtrTraitsEiEENS_6detail16IndexBoundsCheckILm5EiEESD_Lm5ESE_iEENS8_INS9_ISB_SC_Lm4ESE_iEESI_SC_Lm5ESE_iEESJ_iiiiiiiii.num_named_barrier, 0
	.set _ZN2at6native12_GLOBAL__N_143conv_depthwise3d_cuda_backward_input_kernelIN3c108BFloat16EfLin1ELin1ELin1ELin1ELin1ELin1ELin1ELin1ELin1EEEvN5torch10headeronly6detail27GenericPackedTensorAccessorINS7_14TensorAccessorINS3_8ArrayRefIlEEKT_Lm4ENS6_16DefaultPtrTraitsEiEENS_6detail16IndexBoundsCheckILm5EiEESD_Lm5ESE_iEENS8_INS9_ISB_SC_Lm4ESE_iEESI_SC_Lm5ESE_iEESJ_iiiiiiiii.private_seg_size, 0
	.set _ZN2at6native12_GLOBAL__N_143conv_depthwise3d_cuda_backward_input_kernelIN3c108BFloat16EfLin1ELin1ELin1ELin1ELin1ELin1ELin1ELin1ELin1EEEvN5torch10headeronly6detail27GenericPackedTensorAccessorINS7_14TensorAccessorINS3_8ArrayRefIlEEKT_Lm4ENS6_16DefaultPtrTraitsEiEENS_6detail16IndexBoundsCheckILm5EiEESD_Lm5ESE_iEENS8_INS9_ISB_SC_Lm4ESE_iEESI_SC_Lm5ESE_iEESJ_iiiiiiiii.uses_vcc, 1
	.set _ZN2at6native12_GLOBAL__N_143conv_depthwise3d_cuda_backward_input_kernelIN3c108BFloat16EfLin1ELin1ELin1ELin1ELin1ELin1ELin1ELin1ELin1EEEvN5torch10headeronly6detail27GenericPackedTensorAccessorINS7_14TensorAccessorINS3_8ArrayRefIlEEKT_Lm4ENS6_16DefaultPtrTraitsEiEENS_6detail16IndexBoundsCheckILm5EiEESD_Lm5ESE_iEENS8_INS9_ISB_SC_Lm4ESE_iEESI_SC_Lm5ESE_iEESJ_iiiiiiiii.uses_flat_scratch, 0
	.set _ZN2at6native12_GLOBAL__N_143conv_depthwise3d_cuda_backward_input_kernelIN3c108BFloat16EfLin1ELin1ELin1ELin1ELin1ELin1ELin1ELin1ELin1EEEvN5torch10headeronly6detail27GenericPackedTensorAccessorINS7_14TensorAccessorINS3_8ArrayRefIlEEKT_Lm4ENS6_16DefaultPtrTraitsEiEENS_6detail16IndexBoundsCheckILm5EiEESD_Lm5ESE_iEENS8_INS9_ISB_SC_Lm4ESE_iEESI_SC_Lm5ESE_iEESJ_iiiiiiiii.has_dyn_sized_stack, 0
	.set _ZN2at6native12_GLOBAL__N_143conv_depthwise3d_cuda_backward_input_kernelIN3c108BFloat16EfLin1ELin1ELin1ELin1ELin1ELin1ELin1ELin1ELin1EEEvN5torch10headeronly6detail27GenericPackedTensorAccessorINS7_14TensorAccessorINS3_8ArrayRefIlEEKT_Lm4ENS6_16DefaultPtrTraitsEiEENS_6detail16IndexBoundsCheckILm5EiEESD_Lm5ESE_iEENS8_INS9_ISB_SC_Lm4ESE_iEESI_SC_Lm5ESE_iEESJ_iiiiiiiii.has_recursion, 0
	.set _ZN2at6native12_GLOBAL__N_143conv_depthwise3d_cuda_backward_input_kernelIN3c108BFloat16EfLin1ELin1ELin1ELin1ELin1ELin1ELin1ELin1ELin1EEEvN5torch10headeronly6detail27GenericPackedTensorAccessorINS7_14TensorAccessorINS3_8ArrayRefIlEEKT_Lm4ENS6_16DefaultPtrTraitsEiEENS_6detail16IndexBoundsCheckILm5EiEESD_Lm5ESE_iEENS8_INS9_ISB_SC_Lm4ESE_iEESI_SC_Lm5ESE_iEESJ_iiiiiiiii.has_indirect_call, 0
	.section	.AMDGPU.csdata,"",@progbits
; Kernel info:
; codeLenInByte = 2560
; TotalNumSgprs: 77
; NumVgprs: 27
; ScratchSize: 0
; MemoryBound: 0
; FloatMode: 240
; IeeeMode: 1
; LDSByteSize: 0 bytes/workgroup (compile time only)
; SGPRBlocks: 0
; VGPRBlocks: 3
; NumSGPRsForWavesPerEU: 77
; NumVGPRsForWavesPerEU: 27
; Occupancy: 16
; WaveLimiterHint : 0
; COMPUTE_PGM_RSRC2:SCRATCH_EN: 0
; COMPUTE_PGM_RSRC2:USER_SGPR: 2
; COMPUTE_PGM_RSRC2:TRAP_HANDLER: 0
; COMPUTE_PGM_RSRC2:TGID_X_EN: 1
; COMPUTE_PGM_RSRC2:TGID_Y_EN: 0
; COMPUTE_PGM_RSRC2:TGID_Z_EN: 0
; COMPUTE_PGM_RSRC2:TIDIG_COMP_CNT: 0
	.section	.text._ZN2at6native12_GLOBAL__N_144conv_depthwise3d_cuda_backward_weight_kernelIddLi1ELi1EEEvN5torch10headeronly6detail27GenericPackedTensorAccessorINS5_14TensorAccessorIN3c108ArrayRefIlEEKT_Lm4ENS4_16DefaultPtrTraitsEiEENS_6detail16IndexBoundsCheckILm5EiEESC_Lm5ESD_iEESI_NS6_INS7_ISA_SB_Lm4ESD_iEESH_SB_Lm5ESD_iEEiiiiiiiii,"axG",@progbits,_ZN2at6native12_GLOBAL__N_144conv_depthwise3d_cuda_backward_weight_kernelIddLi1ELi1EEEvN5torch10headeronly6detail27GenericPackedTensorAccessorINS5_14TensorAccessorIN3c108ArrayRefIlEEKT_Lm4ENS4_16DefaultPtrTraitsEiEENS_6detail16IndexBoundsCheckILm5EiEESC_Lm5ESD_iEESI_NS6_INS7_ISA_SB_Lm4ESD_iEESH_SB_Lm5ESD_iEEiiiiiiiii,comdat
	.globl	_ZN2at6native12_GLOBAL__N_144conv_depthwise3d_cuda_backward_weight_kernelIddLi1ELi1EEEvN5torch10headeronly6detail27GenericPackedTensorAccessorINS5_14TensorAccessorIN3c108ArrayRefIlEEKT_Lm4ENS4_16DefaultPtrTraitsEiEENS_6detail16IndexBoundsCheckILm5EiEESC_Lm5ESD_iEESI_NS6_INS7_ISA_SB_Lm4ESD_iEESH_SB_Lm5ESD_iEEiiiiiiiii ; -- Begin function _ZN2at6native12_GLOBAL__N_144conv_depthwise3d_cuda_backward_weight_kernelIddLi1ELi1EEEvN5torch10headeronly6detail27GenericPackedTensorAccessorINS5_14TensorAccessorIN3c108ArrayRefIlEEKT_Lm4ENS4_16DefaultPtrTraitsEiEENS_6detail16IndexBoundsCheckILm5EiEESC_Lm5ESD_iEESI_NS6_INS7_ISA_SB_Lm4ESD_iEESH_SB_Lm5ESD_iEEiiiiiiiii
	.p2align	8
	.type	_ZN2at6native12_GLOBAL__N_144conv_depthwise3d_cuda_backward_weight_kernelIddLi1ELi1EEEvN5torch10headeronly6detail27GenericPackedTensorAccessorINS5_14TensorAccessorIN3c108ArrayRefIlEEKT_Lm4ENS4_16DefaultPtrTraitsEiEENS_6detail16IndexBoundsCheckILm5EiEESC_Lm5ESD_iEESI_NS6_INS7_ISA_SB_Lm4ESD_iEESH_SB_Lm5ESD_iEEiiiiiiiii,@function
_ZN2at6native12_GLOBAL__N_144conv_depthwise3d_cuda_backward_weight_kernelIddLi1ELi1EEEvN5torch10headeronly6detail27GenericPackedTensorAccessorINS5_14TensorAccessorIN3c108ArrayRefIlEEKT_Lm4ENS4_16DefaultPtrTraitsEiEENS_6detail16IndexBoundsCheckILm5EiEESC_Lm5ESD_iEESI_NS6_INS7_ISA_SB_Lm4ESD_iEESH_SB_Lm5ESD_iEEiiiiiiiii: ; @_ZN2at6native12_GLOBAL__N_144conv_depthwise3d_cuda_backward_weight_kernelIddLi1ELi1EEEvN5torch10headeronly6detail27GenericPackedTensorAccessorINS5_14TensorAccessorIN3c108ArrayRefIlEEKT_Lm4ENS4_16DefaultPtrTraitsEiEENS_6detail16IndexBoundsCheckILm5EiEESC_Lm5ESD_iEESI_NS6_INS7_ISA_SB_Lm4ESD_iEESH_SB_Lm5ESD_iEEiiiiiiiii
; %bb.0:
	s_clause 0x2
	s_load_b128 s[4:7], s[0:1], 0x70
	s_load_b128 s[12:15], s[0:1], 0x3c
	;; [unrolled: 1-line block ×3, first 2 shown]
	s_wait_kmcnt 0x0
	s_cvt_f32_u32 s2, s6
	s_cvt_f32_u32 s3, s5
	s_sub_co_i32 s8, 0, s6
	s_delay_alu instid0(SALU_CYCLE_1) | instskip(NEXT) | instid1(TRANS32_DEP_1)
	v_rcp_iflag_f32_e32 v1, s2
	v_readfirstlane_b32 s2, v1
	v_rcp_iflag_f32_e32 v1, s3
	s_mul_f32 s2, s2, 0x4f7ffffe
	s_wait_alu 0xfffe
	s_delay_alu instid0(SALU_CYCLE_2) | instskip(NEXT) | instid1(TRANS32_DEP_1)
	s_cvt_u32_f32 s2, s2
	v_readfirstlane_b32 s9, v1
	s_wait_alu 0xfffe
	s_delay_alu instid0(SALU_CYCLE_1) | instskip(NEXT) | instid1(SALU_CYCLE_1)
	s_mul_i32 s8, s8, s2
	s_mul_hi_u32 s3, s2, s8
	s_mul_f32 s9, s9, 0x4f7ffffe
	s_wait_alu 0xfffe
	s_add_co_i32 s2, s2, s3
	s_cvt_f32_u32 s3, s4
	s_wait_alu 0xfffe
	s_mul_hi_u32 s2, ttmp9, s2
	s_wait_alu 0xfffe
	s_mul_i32 s8, s2, s6
	s_add_co_i32 s10, s2, 1
	s_sub_co_i32 s8, ttmp9, s8
	v_rcp_iflag_f32_e32 v1, s3
	s_sub_co_i32 s11, s8, s6
	s_cmp_ge_u32 s8, s6
	s_cselect_b32 s2, s10, s2
	s_cselect_b32 s8, s11, s8
	s_wait_alu 0xfffe
	s_add_co_i32 s10, s2, 1
	s_cmp_ge_u32 s8, s6
	s_cvt_u32_f32 s8, s9
	s_cselect_b32 s2, s10, s2
	s_sub_co_i32 s9, 0, s5
	s_delay_alu instid0(SALU_CYCLE_1) | instskip(NEXT) | instid1(SALU_CYCLE_1)
	s_mul_i32 s9, s9, s8
	s_mul_hi_u32 s3, s8, s9
	v_readfirstlane_b32 s9, v1
	s_wait_alu 0xfffe
	s_add_co_i32 s8, s8, s3
	s_delay_alu instid0(SALU_CYCLE_1)
	s_mul_hi_u32 s3, s2, s8
	s_wait_alu 0xfffe
	s_mul_i32 s8, s3, s5
	s_add_co_i32 s10, s3, 1
	s_sub_co_i32 s8, s2, s8
	s_mul_f32 s9, s9, 0x4f7ffffe
	s_sub_co_i32 s11, s8, s5
	s_cmp_ge_u32 s8, s5
	s_cselect_b32 s3, s10, s3
	s_cselect_b32 s8, s11, s8
	s_wait_alu 0xfffe
	s_add_co_i32 s10, s3, 1
	s_cmp_ge_u32 s8, s5
	s_cvt_u32_f32 s8, s9
	s_cselect_b32 s20, s10, s3
	s_sub_co_i32 s3, 0, s4
	s_wait_alu 0xfffe
	s_mul_i32 s3, s3, s8
	s_wait_alu 0xfffe
	s_mul_hi_u32 s3, s8, s3
	s_wait_alu 0xfffe
	s_add_co_i32 s8, s8, s3
	s_delay_alu instid0(SALU_CYCLE_1) | instskip(SKIP_4) | instid1(SALU_CYCLE_1)
	s_mul_hi_u32 s3, s20, s8
	s_wait_alu 0xfffe
	s_mul_i32 s8, s3, s4
	s_add_co_i32 s9, s3, 1
	s_sub_co_i32 s8, s20, s8
	s_sub_co_i32 s10, s8, s4
	s_cmp_ge_u32 s8, s4
	s_cselect_b32 s3, s9, s3
	s_cselect_b32 s8, s10, s8
	s_wait_alu 0xfffe
	s_add_co_i32 s9, s3, 1
	s_cmp_ge_u32 s8, s4
	s_cselect_b32 s27, s9, s3
	s_abs_i32 s3, s12
	s_abs_i32 s10, s16
	s_wait_alu 0xfffe
	s_cvt_f32_u32 s8, s3
	s_sub_co_i32 s9, 0, s3
	s_delay_alu instid0(SALU_CYCLE_2) | instskip(NEXT) | instid1(TRANS32_DEP_1)
	v_rcp_iflag_f32_e32 v1, s8
	v_readfirstlane_b32 s8, v1
	s_mul_f32 s8, s8, 0x4f7ffffe
	s_wait_alu 0xfffe
	s_delay_alu instid0(SALU_CYCLE_2) | instskip(SKIP_1) | instid1(SALU_CYCLE_2)
	s_cvt_u32_f32 s8, s8
	s_wait_alu 0xfffe
	s_mul_i32 s9, s9, s8
	s_wait_alu 0xfffe
	s_mul_hi_u32 s9, s8, s9
	s_wait_alu 0xfffe
	s_add_co_i32 s8, s8, s9
	s_xor_b32 s9, s16, s12
	s_wait_alu 0xfffe
	s_mul_hi_u32 s8, s10, s8
	s_ashr_i32 s9, s9, 31
	s_wait_alu 0xfffe
	s_mul_i32 s11, s8, s3
	s_delay_alu instid0(SALU_CYCLE_1)
	s_sub_co_i32 s10, s10, s11
	s_add_co_i32 s11, s8, 1
	s_sub_co_i32 s12, s10, s3
	s_cmp_ge_u32 s10, s3
	s_cselect_b32 s8, s11, s8
	s_cselect_b32 s10, s12, s10
	s_wait_alu 0xfffe
	s_add_co_i32 s11, s8, 1
	s_cmp_ge_u32 s10, s3
	s_cselect_b32 s3, s11, s8
	s_load_b32 s8, s[0:1], 0x68
	s_xor_b32 s3, s3, s9
	s_wait_alu 0xfffe
	s_sub_co_i32 s21, s3, s9
	s_delay_alu instid0(SALU_CYCLE_1) | instskip(NEXT) | instid1(SALU_CYCLE_1)
	s_abs_i32 s12, s21
	s_cvt_f32_u32 s3, s12
	s_wait_alu 0xfffe
	s_delay_alu instid0(SALU_CYCLE_2) | instskip(SKIP_3) | instid1(TRANS32_DEP_1)
	v_rcp_iflag_f32_e32 v1, s3
	s_mov_b32 s3, 0
	s_wait_kmcnt 0x0
	s_cmp_ge_i32 s27, s8
	v_readfirstlane_b32 s22, v1
	s_cbranch_scc1 .LBB32_28
; %bb.1:
	s_load_b32 s38, s[0:1], 0x38
	s_add_nc_u64 s[28:29], s[0:1], 0x60
	s_load_b32 s23, s[0:1], 0xc4
	s_load_b128 s[8:11], s[28:29], 0x24
	v_mov_b32_e32 v1, 0
	v_lshrrev_b32_e32 v10, 5, v0
	v_mov_b32_e32 v2, 0
	s_mul_i32 s6, s2, s6
	s_mul_i32 s5, s20, s5
	;; [unrolled: 1-line block ×3, first 2 shown]
	s_sub_co_i32 s16, ttmp9, s6
	s_sub_co_i32 s33, s2, s5
	s_sub_co_i32 s36, s20, s4
	s_mov_b32 s39, exec_lo
	s_wait_kmcnt 0x0
	s_mul_i32 s38, s38, s17
	s_and_b32 s37, s23, 0xffff
	v_cmpx_gt_i32_e64 s38, v10
	s_cbranch_execz .LBB32_23
; %bb.2:
	s_mul_f32 s2, s22, 0x4f7ffffe
	s_mov_b32 s40, 0
	s_wait_alu 0xfffe
	s_delay_alu instid0(SALU_CYCLE_1) | instskip(SKIP_2) | instid1(SALU_CYCLE_1)
	s_cvt_u32_f32 s4, s2
	s_sub_co_i32 s2, 0, s12
	s_wait_alu 0xfffe
	s_mul_i32 s5, s2, s4
	s_abs_i32 s2, s27
	s_mul_hi_u32 s6, s4, s5
	s_mov_b32 s5, s3
	s_add_co_i32 s4, s4, s6
	s_ashr_i32 s6, s21, 31
	s_wait_alu 0xfffe
	s_mul_u64 s[4:5], s[2:3], s[4:5]
	s_ashr_i32 s4, s27, 31
	s_mul_i32 s20, s5, s12
	s_lshr_b32 s3, s37, 5
	s_sub_co_i32 s2, s2, s20
	s_xor_b32 s41, s4, s6
	s_add_co_i32 s4, s5, 1
	s_wait_alu 0xfffe
	s_sub_co_i32 s6, s2, s12
	s_cmp_ge_u32 s2, s12
	s_cselect_b32 s4, s4, s5
	s_cselect_b32 s2, s6, s2
	s_add_co_i32 s5, s4, 1
	s_wait_alu 0xfffe
	s_cmp_ge_u32 s2, s12
	s_cselect_b32 s2, s5, s4
	s_abs_i32 s12, s17
	s_abs_i32 s44, s19
	s_cvt_f32_u32 s4, s12
	s_sub_co_i32 s6, 0, s12
	s_cvt_f32_u32 s5, s44
	s_sub_co_i32 s20, 0, s44
	v_rcp_iflag_f32_e32 v1, s4
	s_delay_alu instid0(SALU_CYCLE_1) | instskip(NEXT) | instid1(TRANS32_DEP_2)
	v_rcp_iflag_f32_e32 v2, s5
	v_readfirstlane_b32 s4, v1
	s_delay_alu instid0(TRANS32_DEP_1) | instskip(SKIP_3) | instid1(SALU_CYCLE_1)
	v_readfirstlane_b32 s5, v2
	s_mul_f32 s4, s4, 0x4f7ffffe
	s_mul_f32 s5, s5, 0x4f7ffffe
	s_wait_alu 0xfffe
	s_cvt_u32_f32 s4, s4
	s_delay_alu instid0(SALU_CYCLE_1) | instskip(SKIP_1) | instid1(SALU_CYCLE_1)
	s_cvt_u32_f32 s5, s5
	s_wait_alu 0xfffe
	s_mul_i32 s6, s6, s4
	s_delay_alu instid0(SALU_CYCLE_1)
	s_mul_hi_u32 s6, s4, s6
	s_mul_i32 s20, s20, s5
	s_add_co_i32 s4, s4, s6
	s_mul_hi_u32 s6, s5, s20
	s_wait_alu 0xfffe
	v_mul_hi_u32 v1, v10, s4
	v_mov_b32_e32 v11, 0
	s_add_co_i32 s5, s5, s6
	s_clause 0x1
	s_load_b128 s[20:23], s[0:1], 0x9c
	s_load_b64 s[42:43], s[0:1], 0xac
	s_delay_alu instid0(VALU_DEP_2) | instskip(SKIP_1) | instid1(VALU_DEP_2)
	v_mul_lo_u32 v4, v1, s12
	v_add_nc_u32_e32 v6, 1, v1
	v_sub_nc_u32_e32 v4, v10, v4
	s_delay_alu instid0(VALU_DEP_1)
	v_cmp_le_u32_e32 vcc_lo, s12, v4
	v_and_b32_e32 v3, 31, v0
	v_subrev_nc_u32_e32 v8, s12, v4
	s_wait_kmcnt 0x0
	s_mul_i32 s43, s16, s43
	v_cndmask_b32_e32 v6, v1, v6, vcc_lo
	v_mul_hi_u32 v2, v3, s5
	s_clause 0x3
	s_load_b64 s[30:31], s[0:1], 0x0
	s_load_b96 s[4:6], s[0:1], 0x1c
	s_load_b64 s[34:35], s[0:1], 0x30
	s_load_b96 s[24:26], s[0:1], 0x4c
	s_mul_i32 s1, s36, s23
	s_ashr_i32 s23, s19, 31
	v_lshlrev_b32_e32 v16, 3, v3
	v_cndmask_b32_e32 v4, v4, v8, vcc_lo
	v_mul_lo_u32 v5, v2, s44
	v_add_nc_u32_e32 v7, 1, v2
	s_delay_alu instid0(VALU_DEP_3) | instskip(SKIP_2) | instid1(SALU_CYCLE_1)
	v_cmp_le_u32_e32 vcc_lo, s12, v4
	s_sub_co_i32 s12, s1, s20
	s_xor_b32 s1, s2, s41
	s_sub_co_i32 s2, s1, s41
	s_delay_alu instid0(VALU_DEP_3) | instskip(NEXT) | instid1(VALU_DEP_1)
	v_sub_nc_u32_e32 v5, v3, v5
	v_cmp_le_u32_e64 s0, s44, v5
	v_subrev_nc_u32_e32 v9, s44, v5
	s_delay_alu instid0(VALU_DEP_2) | instskip(SKIP_1) | instid1(VALU_DEP_3)
	v_cndmask_b32_e64 v7, v2, v7, s0
	v_mov_b32_e32 v1, 0
	v_cndmask_b32_e64 v5, v5, v9, s0
	s_wait_kmcnt 0x0
	s_mul_i32 s0, s5, s27
	s_ashr_i32 s5, s17, 31
	v_add_nc_u32_e32 v9, 1, v7
	v_add_nc_u32_e32 v8, 1, v6
	s_wait_alu 0xfffe
	s_ashr_i32 s1, s0, 31
	v_mov_b32_e32 v2, 0
	s_wait_alu 0xfffe
	s_lshl_b64 s[0:1], s[0:1], 3
	s_wait_alu 0xfffd
	v_cndmask_b32_e32 v4, v6, v8, vcc_lo
	v_cmp_le_u32_e32 vcc_lo, s44, v5
	s_mul_i32 s44, s25, s2
	s_wait_alu 0xfffe
	s_add_nc_u64 s[30:31], s[30:31], s[0:1]
	s_ashr_i32 s45, s44, 31
	v_xor_b32_e32 v4, s5, v4
	s_wait_alu 0xfffd
	v_cndmask_b32_e32 v5, v7, v9, vcc_lo
	s_wait_alu 0xfffe
	s_lshl_b64 s[44:45], s[44:45], 3
	s_mul_i32 s0, s33, s42
	s_wait_alu 0xfffe
	s_add_nc_u64 s[34:35], s[34:35], s[44:45]
	v_subrev_nc_u32_e32 v12, s5, v4
	v_xor_b32_e32 v5, s23, v5
	s_sub_co_i32 s5, s43, s22
	s_sub_co_i32 s20, s0, s21
	s_delay_alu instid0(VALU_DEP_2) | instskip(NEXT) | instid1(VALU_DEP_2)
	v_mul_lo_u32 v4, v12, s17
	v_subrev_nc_u32_e32 v13, s23, v5
	s_delay_alu instid0(VALU_DEP_1) | instskip(SKIP_1) | instid1(VALU_DEP_4)
	v_mul_lo_u32 v5, v13, s19
	v_cmp_gt_i32_e32 vcc_lo, s18, v13
	v_sub_nc_u32_e32 v14, v10, v4
	s_delay_alu instid0(VALU_DEP_3)
	v_sub_nc_u32_e32 v15, v3, v5
	s_branch .LBB32_6
.LBB32_3:                               ;   in Loop: Header=BB32_6 Depth=1
	s_or_b32 exec_lo, exec_lo, s23
.LBB32_4:                               ;   in Loop: Header=BB32_6 Depth=1
	s_wait_alu 0xfffe
	s_or_b32 exec_lo, exec_lo, s22
.LBB32_5:                               ;   in Loop: Header=BB32_6 Depth=1
	s_wait_alu 0xfffe
	s_or_b32 exec_lo, exec_lo, s21
	v_add_nc_u32_e32 v10, s3, v10
	v_add_nc_u32_e32 v14, s3, v14
	s_delay_alu instid0(VALU_DEP_2) | instskip(SKIP_1) | instid1(SALU_CYCLE_1)
	v_cmp_le_i32_e64 s0, s38, v10
	s_or_b32 s40, s0, s40
	s_and_not1_b32 exec_lo, exec_lo, s40
	s_cbranch_execz .LBB32_22
.LBB32_6:                               ; =>This Loop Header: Depth=1
                                        ;     Child Loop BB32_8 Depth 2
                                        ;     Child Loop BB32_14 Depth 2
                                        ;       Child Loop BB32_20 Depth 3
	s_mov_b32 s1, exec_lo
	s_delay_alu instid0(VALU_DEP_2)
	v_cmpx_le_i32_e64 s17, v14
	s_cbranch_execz .LBB32_10
; %bb.7:                                ;   in Loop: Header=BB32_6 Depth=1
	s_mov_b32 s2, 0
.LBB32_8:                               ;   Parent Loop BB32_6 Depth=1
                                        ; =>  This Inner Loop Header: Depth=2
	v_subrev_nc_u32_e32 v14, s17, v14
	v_add_nc_u32_e32 v12, 1, v12
	s_delay_alu instid0(VALU_DEP_2)
	v_cmp_gt_i32_e64 s0, s17, v14
	s_wait_alu 0xfffe
	s_or_b32 s2, s0, s2
	s_wait_alu 0xfffe
	s_and_not1_b32 exec_lo, exec_lo, s2
	s_cbranch_execnz .LBB32_8
; %bb.9:                                ;   in Loop: Header=BB32_6 Depth=1
	s_or_b32 exec_lo, exec_lo, s2
.LBB32_10:                              ;   in Loop: Header=BB32_6 Depth=1
	s_wait_alu 0xfffe
	s_or_b32 exec_lo, exec_lo, s1
	v_mad_co_u64_u32 v[3:4], null, v14, s11, s[12:13]
	s_delay_alu instid0(VALU_DEP_1)
	v_cmp_lt_i32_e64 s0, -1, v3
	v_cmp_gt_i32_e64 s1, s13, v3
	s_and_b32 s0, s0, s1
	s_wait_alu 0xfffe
	s_and_saveexec_b32 s21, s0
	s_cbranch_execz .LBB32_5
; %bb.11:                               ;   in Loop: Header=BB32_6 Depth=1
	s_and_saveexec_b32 s22, vcc_lo
	s_cbranch_execz .LBB32_4
; %bb.12:                               ;   in Loop: Header=BB32_6 Depth=1
	v_mul_lo_u32 v4, s4, v12
	v_mul_lo_u32 v6, s24, v12
	v_mul_lo_u32 v17, s6, v14
	v_mul_lo_u32 v8, s26, v3
	v_dual_mov_b32 v19, v15 :: v_dual_mov_b32 v20, v13
	s_mov_b32 s23, 0
	v_ashrrev_i32_e32 v5, 31, v4
	v_ashrrev_i32_e32 v7, 31, v6
	;; [unrolled: 1-line block ×4, first 2 shown]
	s_delay_alu instid0(VALU_DEP_4) | instskip(NEXT) | instid1(VALU_DEP_4)
	v_lshlrev_b64_e32 v[3:4], 3, v[4:5]
	v_lshlrev_b64_e32 v[5:6], 3, v[6:7]
	s_delay_alu instid0(VALU_DEP_4) | instskip(NEXT) | instid1(VALU_DEP_4)
	v_lshlrev_b64_e32 v[17:18], 3, v[17:18]
	v_lshlrev_b64_e32 v[7:8], 3, v[8:9]
	s_delay_alu instid0(VALU_DEP_4)
	v_add_co_u32 v3, s0, s30, v3
	s_wait_alu 0xf1ff
	v_add_co_ci_u32_e64 v4, null, s31, v4, s0
	v_add_co_u32 v5, s0, s34, v5
	s_wait_alu 0xf1ff
	v_add_co_ci_u32_e64 v6, null, s35, v6, s0
	;; [unrolled: 3-line block ×5, first 2 shown]
	s_branch .LBB32_14
.LBB32_13:                              ;   in Loop: Header=BB32_14 Depth=2
	s_wait_alu 0xfffe
	s_or_b32 exec_lo, exec_lo, s1
	s_wait_loadcnt 0x0
	v_fma_f64 v[1:2], v[5:6], v[7:8], v[1:2]
	v_cmp_le_i32_e64 s0, s18, v20
	v_add_co_u32 v3, s1, 0x100, v3
	s_wait_alu 0xf1ff
	v_add_co_ci_u32_e64 v4, null, 0, v4, s1
	s_or_b32 s23, s0, s23
	s_wait_alu 0xfffe
	s_and_not1_b32 exec_lo, exec_lo, s23
	s_cbranch_execz .LBB32_3
.LBB32_14:                              ;   Parent Loop BB32_6 Depth=1
                                        ; =>  This Loop Header: Depth=2
                                        ;       Child Loop BB32_20 Depth 3
	global_load_b64 v[5:6], v[3:4], off
	v_mov_b32_e32 v7, 0
	v_dual_mov_b32 v8, 0 :: v_dual_add_nc_u32 v9, s5, v19
	s_mov_b32 s25, exec_lo
	s_delay_alu instid0(VALU_DEP_1)
	v_cmpx_lt_i32_e32 -1, v9
	s_cbranch_execz .LBB32_18
; %bb.15:                               ;   in Loop: Header=BB32_14 Depth=2
	v_add_nc_u32_e32 v21, s20, v20
	v_mov_b32_e32 v7, 0
	v_cmp_gt_i32_e64 s0, s15, v9
	v_mov_b32_e32 v8, 0
	s_delay_alu instid0(VALU_DEP_4)
	v_cmp_gt_i32_e64 s1, s14, v21
	v_cmp_lt_i32_e64 s2, -1, v21
	s_and_b32 s0, s0, s1
	s_wait_alu 0xfffe
	s_and_b32 s0, s0, s2
	s_wait_alu 0xfffe
	s_and_saveexec_b32 s1, s0
	s_cbranch_execz .LBB32_17
; %bb.16:                               ;   in Loop: Header=BB32_14 Depth=2
	v_mad_co_u64_u32 v[7:8], null, v21, s15, v[9:10]
	v_mov_b32_e32 v8, v11
	s_delay_alu instid0(VALU_DEP_1) | instskip(NEXT) | instid1(VALU_DEP_1)
	v_lshlrev_b64_e32 v[7:8], 3, v[7:8]
	v_add_co_u32 v7, s0, v17, v7
	s_wait_alu 0xf1ff
	s_delay_alu instid0(VALU_DEP_2)
	v_add_co_ci_u32_e64 v8, null, v18, v8, s0
	global_load_b64 v[7:8], v[7:8], off
.LBB32_17:                              ;   in Loop: Header=BB32_14 Depth=2
	s_wait_alu 0xfffe
	s_or_b32 exec_lo, exec_lo, s1
.LBB32_18:                              ;   in Loop: Header=BB32_14 Depth=2
	s_wait_alu 0xfffe
	s_or_b32 exec_lo, exec_lo, s25
	v_add_nc_u32_e32 v19, 32, v19
	s_mov_b32 s1, exec_lo
	s_delay_alu instid0(VALU_DEP_1)
	v_cmpx_le_i32_e64 s19, v19
	s_cbranch_execz .LBB32_13
; %bb.19:                               ;   in Loop: Header=BB32_14 Depth=2
	s_mov_b32 s2, 0
.LBB32_20:                              ;   Parent Loop BB32_6 Depth=1
                                        ;     Parent Loop BB32_14 Depth=2
                                        ; =>    This Inner Loop Header: Depth=3
	v_subrev_nc_u32_e32 v19, s19, v19
	v_add_nc_u32_e32 v20, 1, v20
	s_delay_alu instid0(VALU_DEP_2)
	v_cmp_gt_i32_e64 s0, s19, v19
	s_wait_alu 0xfffe
	s_or_b32 s2, s0, s2
	s_wait_alu 0xfffe
	s_and_not1_b32 exec_lo, exec_lo, s2
	s_cbranch_execnz .LBB32_20
; %bb.21:                               ;   in Loop: Header=BB32_14 Depth=2
	s_or_b32 exec_lo, exec_lo, s2
	s_branch .LBB32_13
.LBB32_22:
	s_or_b32 exec_lo, exec_lo, s40
.LBB32_23:
	s_delay_alu instid0(SALU_CYCLE_1)
	s_or_b32 exec_lo, exec_lo, s39
	s_load_b64 s[0:1], s[28:29], 0x0
	v_lshl_add_u32 v3, v0, 3, 0
	s_bcnt1_i32_b32 s2, s37
	s_wait_alu 0xfffe
	s_cmp_lg_u32 s2, 1
	s_mov_b32 s2, -1
	ds_store_b64 v3, v[1:2]
	s_wait_dscnt 0x0
	s_barrier_signal -1
	s_barrier_wait -1
	global_inv scope:SCOPE_SE
	s_cbranch_scc1 .LBB32_32
; %bb.24:
	s_wait_alu 0xfffe
	s_and_not1_b32 vcc_lo, exec_lo, s2
	s_wait_alu 0xfffe
	s_cbranch_vccnz .LBB32_28
.LBB32_25:
	s_cmp_lt_u32 s37, 2
	s_cbranch_scc0 .LBB32_30
.LBB32_26:
	s_mov_b32 s2, exec_lo
	v_cmpx_eq_u32_e32 0, v0
	s_cbranch_execz .LBB32_28
; %bb.27:
	v_mov_b32_e32 v2, 0
	s_mul_i32 s2, s7, s27
	s_mul_i32 s4, s8, s36
	s_wait_alu 0xfffe
	s_ashr_i32 s3, s2, 31
	s_ashr_i32 s5, s4, 31
	ds_load_b64 v[0:1], v2
	s_wait_alu 0xfffe
	s_lshl_b64 s[2:3], s[2:3], 3
	s_wait_kmcnt 0x0
	s_wait_alu 0xfffe
	s_add_nc_u64 s[0:1], s[0:1], s[2:3]
	s_lshl_b64 s[2:3], s[4:5], 3
	s_mul_i32 s4, s9, s33
	s_wait_alu 0xfffe
	s_add_nc_u64 s[0:1], s[0:1], s[2:3]
	s_ashr_i32 s5, s4, 31
	s_mul_i32 s2, s10, s16
	s_wait_alu 0xfffe
	s_lshl_b64 s[4:5], s[4:5], 3
	s_ashr_i32 s3, s2, 31
	s_wait_alu 0xfffe
	s_add_nc_u64 s[0:1], s[0:1], s[4:5]
	s_lshl_b64 s[2:3], s[2:3], 3
	s_wait_alu 0xfffe
	s_add_nc_u64 s[0:1], s[0:1], s[2:3]
	s_wait_dscnt 0x0
	global_store_b64 v2, v[0:1], s[0:1]
.LBB32_28:
	s_endpgm
.LBB32_29:                              ;   in Loop: Header=BB32_30 Depth=1
	s_or_b32 exec_lo, exec_lo, s3
	s_cmp_lt_u32 s37, 4
	s_mov_b32 s37, s2
	s_wait_loadcnt_dscnt 0x0
	s_barrier_signal -1
	s_barrier_wait -1
	global_inv scope:SCOPE_SE
	s_cbranch_scc1 .LBB32_26
.LBB32_30:                              ; =>This Inner Loop Header: Depth=1
	s_lshr_b32 s2, s37, 1
	s_mov_b32 s3, exec_lo
	s_wait_alu 0xfffe
	v_cmpx_gt_u32_e64 s2, v0
	s_cbranch_execz .LBB32_29
; %bb.31:                               ;   in Loop: Header=BB32_30 Depth=1
	v_lshl_add_u32 v1, s2, 3, v3
	ds_load_b64 v[1:2], v1
	ds_load_b64 v[4:5], v3
	s_wait_dscnt 0x0
	v_add_f64_e32 v[1:2], v[1:2], v[4:5]
	ds_store_b64 v3, v[1:2]
	s_branch .LBB32_29
.LBB32_32:
	s_trap 2
	; divergent unreachable
	s_cbranch_execz .LBB32_25
	s_branch .LBB32_28
	.section	.rodata,"a",@progbits
	.p2align	6, 0x0
	.amdhsa_kernel _ZN2at6native12_GLOBAL__N_144conv_depthwise3d_cuda_backward_weight_kernelIddLi1ELi1EEEvN5torch10headeronly6detail27GenericPackedTensorAccessorINS5_14TensorAccessorIN3c108ArrayRefIlEEKT_Lm4ENS4_16DefaultPtrTraitsEiEENS_6detail16IndexBoundsCheckILm5EiEESC_Lm5ESD_iEESI_NS6_INS7_ISA_SB_Lm4ESD_iEESH_SB_Lm5ESD_iEEiiiiiiiii
		.amdhsa_group_segment_fixed_size 0
		.amdhsa_private_segment_fixed_size 0
		.amdhsa_kernarg_size 440
		.amdhsa_user_sgpr_count 2
		.amdhsa_user_sgpr_dispatch_ptr 0
		.amdhsa_user_sgpr_queue_ptr 0
		.amdhsa_user_sgpr_kernarg_segment_ptr 1
		.amdhsa_user_sgpr_dispatch_id 0
		.amdhsa_user_sgpr_private_segment_size 0
		.amdhsa_wavefront_size32 1
		.amdhsa_uses_dynamic_stack 0
		.amdhsa_enable_private_segment 0
		.amdhsa_system_sgpr_workgroup_id_x 1
		.amdhsa_system_sgpr_workgroup_id_y 0
		.amdhsa_system_sgpr_workgroup_id_z 0
		.amdhsa_system_sgpr_workgroup_info 0
		.amdhsa_system_vgpr_workitem_id 0
		.amdhsa_next_free_vgpr 22
		.amdhsa_next_free_sgpr 46
		.amdhsa_reserve_vcc 1
		.amdhsa_float_round_mode_32 0
		.amdhsa_float_round_mode_16_64 0
		.amdhsa_float_denorm_mode_32 3
		.amdhsa_float_denorm_mode_16_64 3
		.amdhsa_fp16_overflow 0
		.amdhsa_workgroup_processor_mode 1
		.amdhsa_memory_ordered 1
		.amdhsa_forward_progress 1
		.amdhsa_inst_pref_size 19
		.amdhsa_round_robin_scheduling 0
		.amdhsa_exception_fp_ieee_invalid_op 0
		.amdhsa_exception_fp_denorm_src 0
		.amdhsa_exception_fp_ieee_div_zero 0
		.amdhsa_exception_fp_ieee_overflow 0
		.amdhsa_exception_fp_ieee_underflow 0
		.amdhsa_exception_fp_ieee_inexact 0
		.amdhsa_exception_int_div_zero 0
	.end_amdhsa_kernel
	.section	.text._ZN2at6native12_GLOBAL__N_144conv_depthwise3d_cuda_backward_weight_kernelIddLi1ELi1EEEvN5torch10headeronly6detail27GenericPackedTensorAccessorINS5_14TensorAccessorIN3c108ArrayRefIlEEKT_Lm4ENS4_16DefaultPtrTraitsEiEENS_6detail16IndexBoundsCheckILm5EiEESC_Lm5ESD_iEESI_NS6_INS7_ISA_SB_Lm4ESD_iEESH_SB_Lm5ESD_iEEiiiiiiiii,"axG",@progbits,_ZN2at6native12_GLOBAL__N_144conv_depthwise3d_cuda_backward_weight_kernelIddLi1ELi1EEEvN5torch10headeronly6detail27GenericPackedTensorAccessorINS5_14TensorAccessorIN3c108ArrayRefIlEEKT_Lm4ENS4_16DefaultPtrTraitsEiEENS_6detail16IndexBoundsCheckILm5EiEESC_Lm5ESD_iEESI_NS6_INS7_ISA_SB_Lm4ESD_iEESH_SB_Lm5ESD_iEEiiiiiiiii,comdat
.Lfunc_end32:
	.size	_ZN2at6native12_GLOBAL__N_144conv_depthwise3d_cuda_backward_weight_kernelIddLi1ELi1EEEvN5torch10headeronly6detail27GenericPackedTensorAccessorINS5_14TensorAccessorIN3c108ArrayRefIlEEKT_Lm4ENS4_16DefaultPtrTraitsEiEENS_6detail16IndexBoundsCheckILm5EiEESC_Lm5ESD_iEESI_NS6_INS7_ISA_SB_Lm4ESD_iEESH_SB_Lm5ESD_iEEiiiiiiiii, .Lfunc_end32-_ZN2at6native12_GLOBAL__N_144conv_depthwise3d_cuda_backward_weight_kernelIddLi1ELi1EEEvN5torch10headeronly6detail27GenericPackedTensorAccessorINS5_14TensorAccessorIN3c108ArrayRefIlEEKT_Lm4ENS4_16DefaultPtrTraitsEiEENS_6detail16IndexBoundsCheckILm5EiEESC_Lm5ESD_iEESI_NS6_INS7_ISA_SB_Lm4ESD_iEESH_SB_Lm5ESD_iEEiiiiiiiii
                                        ; -- End function
	.set _ZN2at6native12_GLOBAL__N_144conv_depthwise3d_cuda_backward_weight_kernelIddLi1ELi1EEEvN5torch10headeronly6detail27GenericPackedTensorAccessorINS5_14TensorAccessorIN3c108ArrayRefIlEEKT_Lm4ENS4_16DefaultPtrTraitsEiEENS_6detail16IndexBoundsCheckILm5EiEESC_Lm5ESD_iEESI_NS6_INS7_ISA_SB_Lm4ESD_iEESH_SB_Lm5ESD_iEEiiiiiiiii.num_vgpr, 22
	.set _ZN2at6native12_GLOBAL__N_144conv_depthwise3d_cuda_backward_weight_kernelIddLi1ELi1EEEvN5torch10headeronly6detail27GenericPackedTensorAccessorINS5_14TensorAccessorIN3c108ArrayRefIlEEKT_Lm4ENS4_16DefaultPtrTraitsEiEENS_6detail16IndexBoundsCheckILm5EiEESC_Lm5ESD_iEESI_NS6_INS7_ISA_SB_Lm4ESD_iEESH_SB_Lm5ESD_iEEiiiiiiiii.num_agpr, 0
	.set _ZN2at6native12_GLOBAL__N_144conv_depthwise3d_cuda_backward_weight_kernelIddLi1ELi1EEEvN5torch10headeronly6detail27GenericPackedTensorAccessorINS5_14TensorAccessorIN3c108ArrayRefIlEEKT_Lm4ENS4_16DefaultPtrTraitsEiEENS_6detail16IndexBoundsCheckILm5EiEESC_Lm5ESD_iEESI_NS6_INS7_ISA_SB_Lm4ESD_iEESH_SB_Lm5ESD_iEEiiiiiiiii.numbered_sgpr, 46
	.set _ZN2at6native12_GLOBAL__N_144conv_depthwise3d_cuda_backward_weight_kernelIddLi1ELi1EEEvN5torch10headeronly6detail27GenericPackedTensorAccessorINS5_14TensorAccessorIN3c108ArrayRefIlEEKT_Lm4ENS4_16DefaultPtrTraitsEiEENS_6detail16IndexBoundsCheckILm5EiEESC_Lm5ESD_iEESI_NS6_INS7_ISA_SB_Lm4ESD_iEESH_SB_Lm5ESD_iEEiiiiiiiii.num_named_barrier, 0
	.set _ZN2at6native12_GLOBAL__N_144conv_depthwise3d_cuda_backward_weight_kernelIddLi1ELi1EEEvN5torch10headeronly6detail27GenericPackedTensorAccessorINS5_14TensorAccessorIN3c108ArrayRefIlEEKT_Lm4ENS4_16DefaultPtrTraitsEiEENS_6detail16IndexBoundsCheckILm5EiEESC_Lm5ESD_iEESI_NS6_INS7_ISA_SB_Lm4ESD_iEESH_SB_Lm5ESD_iEEiiiiiiiii.private_seg_size, 0
	.set _ZN2at6native12_GLOBAL__N_144conv_depthwise3d_cuda_backward_weight_kernelIddLi1ELi1EEEvN5torch10headeronly6detail27GenericPackedTensorAccessorINS5_14TensorAccessorIN3c108ArrayRefIlEEKT_Lm4ENS4_16DefaultPtrTraitsEiEENS_6detail16IndexBoundsCheckILm5EiEESC_Lm5ESD_iEESI_NS6_INS7_ISA_SB_Lm4ESD_iEESH_SB_Lm5ESD_iEEiiiiiiiii.uses_vcc, 1
	.set _ZN2at6native12_GLOBAL__N_144conv_depthwise3d_cuda_backward_weight_kernelIddLi1ELi1EEEvN5torch10headeronly6detail27GenericPackedTensorAccessorINS5_14TensorAccessorIN3c108ArrayRefIlEEKT_Lm4ENS4_16DefaultPtrTraitsEiEENS_6detail16IndexBoundsCheckILm5EiEESC_Lm5ESD_iEESI_NS6_INS7_ISA_SB_Lm4ESD_iEESH_SB_Lm5ESD_iEEiiiiiiiii.uses_flat_scratch, 0
	.set _ZN2at6native12_GLOBAL__N_144conv_depthwise3d_cuda_backward_weight_kernelIddLi1ELi1EEEvN5torch10headeronly6detail27GenericPackedTensorAccessorINS5_14TensorAccessorIN3c108ArrayRefIlEEKT_Lm4ENS4_16DefaultPtrTraitsEiEENS_6detail16IndexBoundsCheckILm5EiEESC_Lm5ESD_iEESI_NS6_INS7_ISA_SB_Lm4ESD_iEESH_SB_Lm5ESD_iEEiiiiiiiii.has_dyn_sized_stack, 0
	.set _ZN2at6native12_GLOBAL__N_144conv_depthwise3d_cuda_backward_weight_kernelIddLi1ELi1EEEvN5torch10headeronly6detail27GenericPackedTensorAccessorINS5_14TensorAccessorIN3c108ArrayRefIlEEKT_Lm4ENS4_16DefaultPtrTraitsEiEENS_6detail16IndexBoundsCheckILm5EiEESC_Lm5ESD_iEESI_NS6_INS7_ISA_SB_Lm4ESD_iEESH_SB_Lm5ESD_iEEiiiiiiiii.has_recursion, 0
	.set _ZN2at6native12_GLOBAL__N_144conv_depthwise3d_cuda_backward_weight_kernelIddLi1ELi1EEEvN5torch10headeronly6detail27GenericPackedTensorAccessorINS5_14TensorAccessorIN3c108ArrayRefIlEEKT_Lm4ENS4_16DefaultPtrTraitsEiEENS_6detail16IndexBoundsCheckILm5EiEESC_Lm5ESD_iEESI_NS6_INS7_ISA_SB_Lm4ESD_iEESH_SB_Lm5ESD_iEEiiiiiiiii.has_indirect_call, 0
	.section	.AMDGPU.csdata,"",@progbits
; Kernel info:
; codeLenInByte = 2348
; TotalNumSgprs: 48
; NumVgprs: 22
; ScratchSize: 0
; MemoryBound: 0
; FloatMode: 240
; IeeeMode: 1
; LDSByteSize: 0 bytes/workgroup (compile time only)
; SGPRBlocks: 0
; VGPRBlocks: 2
; NumSGPRsForWavesPerEU: 48
; NumVGPRsForWavesPerEU: 22
; Occupancy: 16
; WaveLimiterHint : 1
; COMPUTE_PGM_RSRC2:SCRATCH_EN: 0
; COMPUTE_PGM_RSRC2:USER_SGPR: 2
; COMPUTE_PGM_RSRC2:TRAP_HANDLER: 0
; COMPUTE_PGM_RSRC2:TGID_X_EN: 1
; COMPUTE_PGM_RSRC2:TGID_Y_EN: 0
; COMPUTE_PGM_RSRC2:TGID_Z_EN: 0
; COMPUTE_PGM_RSRC2:TIDIG_COMP_CNT: 0
	.section	.text._ZN2at6native12_GLOBAL__N_144conv_depthwise3d_cuda_backward_weight_kernelIddLi2ELi2EEEvN5torch10headeronly6detail27GenericPackedTensorAccessorINS5_14TensorAccessorIN3c108ArrayRefIlEEKT_Lm4ENS4_16DefaultPtrTraitsEiEENS_6detail16IndexBoundsCheckILm5EiEESC_Lm5ESD_iEESI_NS6_INS7_ISA_SB_Lm4ESD_iEESH_SB_Lm5ESD_iEEiiiiiiiii,"axG",@progbits,_ZN2at6native12_GLOBAL__N_144conv_depthwise3d_cuda_backward_weight_kernelIddLi2ELi2EEEvN5torch10headeronly6detail27GenericPackedTensorAccessorINS5_14TensorAccessorIN3c108ArrayRefIlEEKT_Lm4ENS4_16DefaultPtrTraitsEiEENS_6detail16IndexBoundsCheckILm5EiEESC_Lm5ESD_iEESI_NS6_INS7_ISA_SB_Lm4ESD_iEESH_SB_Lm5ESD_iEEiiiiiiiii,comdat
	.globl	_ZN2at6native12_GLOBAL__N_144conv_depthwise3d_cuda_backward_weight_kernelIddLi2ELi2EEEvN5torch10headeronly6detail27GenericPackedTensorAccessorINS5_14TensorAccessorIN3c108ArrayRefIlEEKT_Lm4ENS4_16DefaultPtrTraitsEiEENS_6detail16IndexBoundsCheckILm5EiEESC_Lm5ESD_iEESI_NS6_INS7_ISA_SB_Lm4ESD_iEESH_SB_Lm5ESD_iEEiiiiiiiii ; -- Begin function _ZN2at6native12_GLOBAL__N_144conv_depthwise3d_cuda_backward_weight_kernelIddLi2ELi2EEEvN5torch10headeronly6detail27GenericPackedTensorAccessorINS5_14TensorAccessorIN3c108ArrayRefIlEEKT_Lm4ENS4_16DefaultPtrTraitsEiEENS_6detail16IndexBoundsCheckILm5EiEESC_Lm5ESD_iEESI_NS6_INS7_ISA_SB_Lm4ESD_iEESH_SB_Lm5ESD_iEEiiiiiiiii
	.p2align	8
	.type	_ZN2at6native12_GLOBAL__N_144conv_depthwise3d_cuda_backward_weight_kernelIddLi2ELi2EEEvN5torch10headeronly6detail27GenericPackedTensorAccessorINS5_14TensorAccessorIN3c108ArrayRefIlEEKT_Lm4ENS4_16DefaultPtrTraitsEiEENS_6detail16IndexBoundsCheckILm5EiEESC_Lm5ESD_iEESI_NS6_INS7_ISA_SB_Lm4ESD_iEESH_SB_Lm5ESD_iEEiiiiiiiii,@function
_ZN2at6native12_GLOBAL__N_144conv_depthwise3d_cuda_backward_weight_kernelIddLi2ELi2EEEvN5torch10headeronly6detail27GenericPackedTensorAccessorINS5_14TensorAccessorIN3c108ArrayRefIlEEKT_Lm4ENS4_16DefaultPtrTraitsEiEENS_6detail16IndexBoundsCheckILm5EiEESC_Lm5ESD_iEESI_NS6_INS7_ISA_SB_Lm4ESD_iEESH_SB_Lm5ESD_iEEiiiiiiiii: ; @_ZN2at6native12_GLOBAL__N_144conv_depthwise3d_cuda_backward_weight_kernelIddLi2ELi2EEEvN5torch10headeronly6detail27GenericPackedTensorAccessorINS5_14TensorAccessorIN3c108ArrayRefIlEEKT_Lm4ENS4_16DefaultPtrTraitsEiEENS_6detail16IndexBoundsCheckILm5EiEESC_Lm5ESD_iEESI_NS6_INS7_ISA_SB_Lm4ESD_iEESH_SB_Lm5ESD_iEEiiiiiiiii
; %bb.0:
	s_clause 0x2
	s_load_b128 s[4:7], s[0:1], 0x70
	s_load_b128 s[12:15], s[0:1], 0x3c
	s_load_b128 s[16:19], s[0:1], 0xc
	s_wait_kmcnt 0x0
	s_cvt_f32_u32 s2, s6
	s_cvt_f32_u32 s3, s5
	s_sub_co_i32 s8, 0, s6
	s_delay_alu instid0(SALU_CYCLE_1) | instskip(NEXT) | instid1(TRANS32_DEP_1)
	v_rcp_iflag_f32_e32 v1, s2
	v_readfirstlane_b32 s2, v1
	v_rcp_iflag_f32_e32 v1, s3
	s_mul_f32 s2, s2, 0x4f7ffffe
	s_wait_alu 0xfffe
	s_delay_alu instid0(SALU_CYCLE_2) | instskip(NEXT) | instid1(TRANS32_DEP_1)
	s_cvt_u32_f32 s2, s2
	v_readfirstlane_b32 s9, v1
	s_wait_alu 0xfffe
	s_delay_alu instid0(SALU_CYCLE_1) | instskip(NEXT) | instid1(SALU_CYCLE_1)
	s_mul_i32 s8, s8, s2
	s_mul_hi_u32 s3, s2, s8
	s_mul_f32 s9, s9, 0x4f7ffffe
	s_wait_alu 0xfffe
	s_add_co_i32 s2, s2, s3
	s_cvt_f32_u32 s3, s4
	s_wait_alu 0xfffe
	s_mul_hi_u32 s2, ttmp9, s2
	s_wait_alu 0xfffe
	s_mul_i32 s8, s2, s6
	s_add_co_i32 s10, s2, 1
	s_sub_co_i32 s8, ttmp9, s8
	v_rcp_iflag_f32_e32 v1, s3
	s_sub_co_i32 s11, s8, s6
	s_cmp_ge_u32 s8, s6
	s_cselect_b32 s2, s10, s2
	s_cselect_b32 s8, s11, s8
	s_wait_alu 0xfffe
	s_add_co_i32 s10, s2, 1
	s_cmp_ge_u32 s8, s6
	s_cvt_u32_f32 s8, s9
	s_cselect_b32 s2, s10, s2
	s_sub_co_i32 s9, 0, s5
	s_delay_alu instid0(SALU_CYCLE_1) | instskip(NEXT) | instid1(SALU_CYCLE_1)
	s_mul_i32 s9, s9, s8
	s_mul_hi_u32 s3, s8, s9
	v_readfirstlane_b32 s9, v1
	s_wait_alu 0xfffe
	s_add_co_i32 s8, s8, s3
	s_delay_alu instid0(SALU_CYCLE_1)
	s_mul_hi_u32 s3, s2, s8
	s_wait_alu 0xfffe
	s_mul_i32 s8, s3, s5
	s_add_co_i32 s10, s3, 1
	s_sub_co_i32 s8, s2, s8
	s_mul_f32 s9, s9, 0x4f7ffffe
	s_sub_co_i32 s11, s8, s5
	s_cmp_ge_u32 s8, s5
	s_cselect_b32 s3, s10, s3
	s_cselect_b32 s8, s11, s8
	s_wait_alu 0xfffe
	s_add_co_i32 s10, s3, 1
	s_cmp_ge_u32 s8, s5
	s_cvt_u32_f32 s8, s9
	s_cselect_b32 s20, s10, s3
	s_sub_co_i32 s3, 0, s4
	s_wait_alu 0xfffe
	s_mul_i32 s3, s3, s8
	s_wait_alu 0xfffe
	s_mul_hi_u32 s3, s8, s3
	s_wait_alu 0xfffe
	s_add_co_i32 s8, s8, s3
	s_delay_alu instid0(SALU_CYCLE_1) | instskip(SKIP_4) | instid1(SALU_CYCLE_1)
	s_mul_hi_u32 s3, s20, s8
	s_wait_alu 0xfffe
	s_mul_i32 s8, s3, s4
	s_add_co_i32 s9, s3, 1
	s_sub_co_i32 s8, s20, s8
	s_sub_co_i32 s10, s8, s4
	s_cmp_ge_u32 s8, s4
	s_cselect_b32 s3, s9, s3
	s_cselect_b32 s8, s10, s8
	s_wait_alu 0xfffe
	s_add_co_i32 s9, s3, 1
	s_cmp_ge_u32 s8, s4
	s_cselect_b32 s27, s9, s3
	s_abs_i32 s3, s12
	s_abs_i32 s10, s16
	s_wait_alu 0xfffe
	s_cvt_f32_u32 s8, s3
	s_sub_co_i32 s9, 0, s3
	s_delay_alu instid0(SALU_CYCLE_2) | instskip(NEXT) | instid1(TRANS32_DEP_1)
	v_rcp_iflag_f32_e32 v1, s8
	v_readfirstlane_b32 s8, v1
	s_mul_f32 s8, s8, 0x4f7ffffe
	s_wait_alu 0xfffe
	s_delay_alu instid0(SALU_CYCLE_2) | instskip(SKIP_1) | instid1(SALU_CYCLE_2)
	s_cvt_u32_f32 s8, s8
	s_wait_alu 0xfffe
	s_mul_i32 s9, s9, s8
	s_wait_alu 0xfffe
	s_mul_hi_u32 s9, s8, s9
	s_wait_alu 0xfffe
	s_add_co_i32 s8, s8, s9
	s_xor_b32 s9, s16, s12
	s_wait_alu 0xfffe
	s_mul_hi_u32 s8, s10, s8
	s_ashr_i32 s9, s9, 31
	s_wait_alu 0xfffe
	s_mul_i32 s11, s8, s3
	s_delay_alu instid0(SALU_CYCLE_1)
	s_sub_co_i32 s10, s10, s11
	s_add_co_i32 s11, s8, 1
	s_sub_co_i32 s12, s10, s3
	s_cmp_ge_u32 s10, s3
	s_cselect_b32 s8, s11, s8
	s_cselect_b32 s10, s12, s10
	s_wait_alu 0xfffe
	s_add_co_i32 s11, s8, 1
	s_cmp_ge_u32 s10, s3
	s_cselect_b32 s3, s11, s8
	s_load_b32 s8, s[0:1], 0x68
	s_xor_b32 s3, s3, s9
	s_wait_alu 0xfffe
	s_sub_co_i32 s21, s3, s9
	s_delay_alu instid0(SALU_CYCLE_1) | instskip(NEXT) | instid1(SALU_CYCLE_1)
	s_abs_i32 s12, s21
	s_cvt_f32_u32 s3, s12
	s_wait_alu 0xfffe
	s_delay_alu instid0(SALU_CYCLE_2) | instskip(SKIP_3) | instid1(TRANS32_DEP_1)
	v_rcp_iflag_f32_e32 v1, s3
	s_mov_b32 s3, 0
	s_wait_kmcnt 0x0
	s_cmp_ge_i32 s27, s8
	v_readfirstlane_b32 s22, v1
	s_cbranch_scc1 .LBB33_28
; %bb.1:
	s_load_b32 s38, s[0:1], 0x38
	s_add_nc_u64 s[28:29], s[0:1], 0x60
	s_load_b32 s23, s[0:1], 0xc4
	s_load_b128 s[8:11], s[28:29], 0x24
	v_mov_b32_e32 v1, 0
	v_lshrrev_b32_e32 v10, 5, v0
	v_mov_b32_e32 v2, 0
	s_mul_i32 s6, s2, s6
	s_mul_i32 s5, s20, s5
	;; [unrolled: 1-line block ×3, first 2 shown]
	s_sub_co_i32 s16, ttmp9, s6
	s_sub_co_i32 s33, s2, s5
	s_sub_co_i32 s36, s20, s4
	s_mov_b32 s39, exec_lo
	s_wait_kmcnt 0x0
	s_mul_i32 s38, s38, s17
	s_and_b32 s37, s23, 0xffff
	v_cmpx_gt_i32_e64 s38, v10
	s_cbranch_execz .LBB33_23
; %bb.2:
	s_mul_f32 s2, s22, 0x4f7ffffe
	s_mov_b32 s40, 0
	s_wait_alu 0xfffe
	s_delay_alu instid0(SALU_CYCLE_1) | instskip(SKIP_2) | instid1(SALU_CYCLE_1)
	s_cvt_u32_f32 s4, s2
	s_sub_co_i32 s2, 0, s12
	s_wait_alu 0xfffe
	s_mul_i32 s5, s2, s4
	s_abs_i32 s2, s27
	s_mul_hi_u32 s6, s4, s5
	s_mov_b32 s5, s3
	s_add_co_i32 s4, s4, s6
	s_ashr_i32 s6, s21, 31
	s_wait_alu 0xfffe
	s_mul_u64 s[4:5], s[2:3], s[4:5]
	s_ashr_i32 s4, s27, 31
	s_mul_i32 s20, s5, s12
	s_lshr_b32 s3, s37, 5
	s_sub_co_i32 s2, s2, s20
	s_xor_b32 s41, s4, s6
	s_add_co_i32 s4, s5, 1
	s_wait_alu 0xfffe
	s_sub_co_i32 s6, s2, s12
	s_cmp_ge_u32 s2, s12
	s_cselect_b32 s4, s4, s5
	s_cselect_b32 s2, s6, s2
	s_add_co_i32 s5, s4, 1
	s_wait_alu 0xfffe
	s_cmp_ge_u32 s2, s12
	s_cselect_b32 s2, s5, s4
	s_abs_i32 s12, s17
	s_abs_i32 s44, s19
	s_cvt_f32_u32 s4, s12
	s_sub_co_i32 s6, 0, s12
	s_cvt_f32_u32 s5, s44
	s_sub_co_i32 s20, 0, s44
	v_rcp_iflag_f32_e32 v1, s4
	s_delay_alu instid0(SALU_CYCLE_1) | instskip(NEXT) | instid1(TRANS32_DEP_2)
	v_rcp_iflag_f32_e32 v2, s5
	v_readfirstlane_b32 s4, v1
	s_delay_alu instid0(TRANS32_DEP_1) | instskip(SKIP_3) | instid1(SALU_CYCLE_1)
	v_readfirstlane_b32 s5, v2
	s_mul_f32 s4, s4, 0x4f7ffffe
	s_mul_f32 s5, s5, 0x4f7ffffe
	s_wait_alu 0xfffe
	s_cvt_u32_f32 s4, s4
	s_delay_alu instid0(SALU_CYCLE_1) | instskip(SKIP_1) | instid1(SALU_CYCLE_1)
	s_cvt_u32_f32 s5, s5
	s_wait_alu 0xfffe
	s_mul_i32 s6, s6, s4
	s_delay_alu instid0(SALU_CYCLE_1)
	s_mul_hi_u32 s6, s4, s6
	s_mul_i32 s20, s20, s5
	s_add_co_i32 s4, s4, s6
	s_mul_hi_u32 s6, s5, s20
	s_wait_alu 0xfffe
	v_mul_hi_u32 v1, v10, s4
	v_mov_b32_e32 v11, 0
	s_add_co_i32 s5, s5, s6
	s_clause 0x1
	s_load_b128 s[20:23], s[0:1], 0x9c
	s_load_b64 s[42:43], s[0:1], 0xac
	s_delay_alu instid0(VALU_DEP_2) | instskip(SKIP_1) | instid1(VALU_DEP_2)
	v_mul_lo_u32 v4, v1, s12
	v_add_nc_u32_e32 v6, 1, v1
	v_sub_nc_u32_e32 v4, v10, v4
	s_delay_alu instid0(VALU_DEP_1)
	v_cmp_le_u32_e32 vcc_lo, s12, v4
	v_and_b32_e32 v3, 31, v0
	v_subrev_nc_u32_e32 v8, s12, v4
	s_wait_kmcnt 0x0
	s_mul_i32 s43, s16, s43
	v_cndmask_b32_e32 v6, v1, v6, vcc_lo
	v_mul_hi_u32 v2, v3, s5
	s_clause 0x3
	s_load_b64 s[30:31], s[0:1], 0x0
	s_load_b96 s[4:6], s[0:1], 0x1c
	s_load_b64 s[34:35], s[0:1], 0x30
	s_load_b96 s[24:26], s[0:1], 0x4c
	s_mul_i32 s1, s36, s23
	s_ashr_i32 s23, s19, 31
	v_lshlrev_b32_e32 v16, 3, v3
	v_cndmask_b32_e32 v4, v4, v8, vcc_lo
	v_mul_lo_u32 v5, v2, s44
	v_add_nc_u32_e32 v7, 1, v2
	s_delay_alu instid0(VALU_DEP_3) | instskip(SKIP_2) | instid1(SALU_CYCLE_1)
	v_cmp_le_u32_e32 vcc_lo, s12, v4
	s_sub_co_i32 s12, s1, s20
	s_xor_b32 s1, s2, s41
	s_sub_co_i32 s2, s1, s41
	s_delay_alu instid0(VALU_DEP_3) | instskip(NEXT) | instid1(VALU_DEP_1)
	v_sub_nc_u32_e32 v5, v3, v5
	v_cmp_le_u32_e64 s0, s44, v5
	v_subrev_nc_u32_e32 v9, s44, v5
	s_delay_alu instid0(VALU_DEP_2) | instskip(SKIP_1) | instid1(VALU_DEP_3)
	v_cndmask_b32_e64 v7, v2, v7, s0
	v_mov_b32_e32 v1, 0
	v_cndmask_b32_e64 v5, v5, v9, s0
	s_wait_kmcnt 0x0
	s_mul_i32 s0, s5, s27
	s_ashr_i32 s5, s17, 31
	v_add_nc_u32_e32 v9, 1, v7
	v_add_nc_u32_e32 v8, 1, v6
	s_wait_alu 0xfffe
	s_ashr_i32 s1, s0, 31
	v_mov_b32_e32 v2, 0
	s_wait_alu 0xfffe
	s_lshl_b64 s[0:1], s[0:1], 3
	s_wait_alu 0xfffd
	v_cndmask_b32_e32 v4, v6, v8, vcc_lo
	v_cmp_le_u32_e32 vcc_lo, s44, v5
	s_mul_i32 s44, s25, s2
	s_wait_alu 0xfffe
	s_add_nc_u64 s[30:31], s[30:31], s[0:1]
	s_ashr_i32 s45, s44, 31
	v_xor_b32_e32 v4, s5, v4
	s_wait_alu 0xfffd
	v_cndmask_b32_e32 v5, v7, v9, vcc_lo
	s_wait_alu 0xfffe
	s_lshl_b64 s[44:45], s[44:45], 3
	s_mul_i32 s0, s33, s42
	s_wait_alu 0xfffe
	s_add_nc_u64 s[34:35], s[34:35], s[44:45]
	v_subrev_nc_u32_e32 v12, s5, v4
	v_xor_b32_e32 v5, s23, v5
	s_sub_co_i32 s5, s43, s22
	s_sub_co_i32 s20, s0, s21
	s_delay_alu instid0(VALU_DEP_2) | instskip(NEXT) | instid1(VALU_DEP_2)
	v_mul_lo_u32 v4, v12, s17
	v_subrev_nc_u32_e32 v13, s23, v5
	s_delay_alu instid0(VALU_DEP_1) | instskip(SKIP_1) | instid1(VALU_DEP_4)
	v_mul_lo_u32 v5, v13, s19
	v_cmp_gt_i32_e32 vcc_lo, s18, v13
	v_sub_nc_u32_e32 v14, v10, v4
	s_delay_alu instid0(VALU_DEP_3)
	v_sub_nc_u32_e32 v15, v3, v5
	s_branch .LBB33_6
.LBB33_3:                               ;   in Loop: Header=BB33_6 Depth=1
	s_or_b32 exec_lo, exec_lo, s23
.LBB33_4:                               ;   in Loop: Header=BB33_6 Depth=1
	s_wait_alu 0xfffe
	s_or_b32 exec_lo, exec_lo, s22
.LBB33_5:                               ;   in Loop: Header=BB33_6 Depth=1
	s_wait_alu 0xfffe
	s_or_b32 exec_lo, exec_lo, s21
	v_add_nc_u32_e32 v10, s3, v10
	v_add_nc_u32_e32 v14, s3, v14
	s_delay_alu instid0(VALU_DEP_2) | instskip(SKIP_1) | instid1(SALU_CYCLE_1)
	v_cmp_le_i32_e64 s0, s38, v10
	s_or_b32 s40, s0, s40
	s_and_not1_b32 exec_lo, exec_lo, s40
	s_cbranch_execz .LBB33_22
.LBB33_6:                               ; =>This Loop Header: Depth=1
                                        ;     Child Loop BB33_8 Depth 2
                                        ;     Child Loop BB33_14 Depth 2
                                        ;       Child Loop BB33_20 Depth 3
	s_mov_b32 s1, exec_lo
	s_delay_alu instid0(VALU_DEP_2)
	v_cmpx_le_i32_e64 s17, v14
	s_cbranch_execz .LBB33_10
; %bb.7:                                ;   in Loop: Header=BB33_6 Depth=1
	s_mov_b32 s2, 0
.LBB33_8:                               ;   Parent Loop BB33_6 Depth=1
                                        ; =>  This Inner Loop Header: Depth=2
	v_subrev_nc_u32_e32 v14, s17, v14
	v_add_nc_u32_e32 v12, 1, v12
	s_delay_alu instid0(VALU_DEP_2)
	v_cmp_gt_i32_e64 s0, s17, v14
	s_wait_alu 0xfffe
	s_or_b32 s2, s0, s2
	s_wait_alu 0xfffe
	s_and_not1_b32 exec_lo, exec_lo, s2
	s_cbranch_execnz .LBB33_8
; %bb.9:                                ;   in Loop: Header=BB33_6 Depth=1
	s_or_b32 exec_lo, exec_lo, s2
.LBB33_10:                              ;   in Loop: Header=BB33_6 Depth=1
	s_wait_alu 0xfffe
	s_or_b32 exec_lo, exec_lo, s1
	v_mad_co_u64_u32 v[3:4], null, v14, s11, s[12:13]
	s_delay_alu instid0(VALU_DEP_1)
	v_cmp_lt_i32_e64 s0, -1, v3
	v_cmp_gt_i32_e64 s1, s13, v3
	s_and_b32 s0, s0, s1
	s_wait_alu 0xfffe
	s_and_saveexec_b32 s21, s0
	s_cbranch_execz .LBB33_5
; %bb.11:                               ;   in Loop: Header=BB33_6 Depth=1
	s_and_saveexec_b32 s22, vcc_lo
	s_cbranch_execz .LBB33_4
; %bb.12:                               ;   in Loop: Header=BB33_6 Depth=1
	v_mul_lo_u32 v4, s4, v12
	v_mul_lo_u32 v6, s24, v12
	;; [unrolled: 1-line block ×4, first 2 shown]
	v_dual_mov_b32 v19, v15 :: v_dual_mov_b32 v20, v13
	s_mov_b32 s23, 0
	v_ashrrev_i32_e32 v5, 31, v4
	v_ashrrev_i32_e32 v7, 31, v6
	;; [unrolled: 1-line block ×4, first 2 shown]
	s_delay_alu instid0(VALU_DEP_4) | instskip(NEXT) | instid1(VALU_DEP_4)
	v_lshlrev_b64_e32 v[3:4], 3, v[4:5]
	v_lshlrev_b64_e32 v[5:6], 3, v[6:7]
	s_delay_alu instid0(VALU_DEP_4) | instskip(NEXT) | instid1(VALU_DEP_4)
	v_lshlrev_b64_e32 v[17:18], 3, v[17:18]
	v_lshlrev_b64_e32 v[7:8], 3, v[8:9]
	s_delay_alu instid0(VALU_DEP_4)
	v_add_co_u32 v3, s0, s30, v3
	s_wait_alu 0xf1ff
	v_add_co_ci_u32_e64 v4, null, s31, v4, s0
	v_add_co_u32 v5, s0, s34, v5
	s_wait_alu 0xf1ff
	v_add_co_ci_u32_e64 v6, null, s35, v6, s0
	;; [unrolled: 3-line block ×5, first 2 shown]
	s_branch .LBB33_14
.LBB33_13:                              ;   in Loop: Header=BB33_14 Depth=2
	s_wait_alu 0xfffe
	s_or_b32 exec_lo, exec_lo, s1
	s_wait_loadcnt 0x0
	v_fma_f64 v[1:2], v[5:6], v[7:8], v[1:2]
	v_cmp_le_i32_e64 s0, s18, v20
	v_add_co_u32 v3, s1, 0x100, v3
	s_wait_alu 0xf1ff
	v_add_co_ci_u32_e64 v4, null, 0, v4, s1
	s_or_b32 s23, s0, s23
	s_wait_alu 0xfffe
	s_and_not1_b32 exec_lo, exec_lo, s23
	s_cbranch_execz .LBB33_3
.LBB33_14:                              ;   Parent Loop BB33_6 Depth=1
                                        ; =>  This Loop Header: Depth=2
                                        ;       Child Loop BB33_20 Depth 3
	global_load_b64 v[5:6], v[3:4], off
	v_mov_b32_e32 v7, 0
	v_lshl_add_u32 v9, v19, 1, s5
	v_mov_b32_e32 v8, 0
	s_mov_b32 s25, exec_lo
	s_delay_alu instid0(VALU_DEP_2)
	v_cmpx_lt_i32_e32 -1, v9
	s_cbranch_execz .LBB33_18
; %bb.15:                               ;   in Loop: Header=BB33_14 Depth=2
	v_lshl_add_u32 v21, v20, 1, s20
	v_cmp_gt_i32_e64 s0, s15, v9
	v_mov_b32_e32 v7, 0
	v_mov_b32_e32 v8, 0
	s_delay_alu instid0(VALU_DEP_4)
	v_cmp_gt_i32_e64 s1, s14, v21
	v_cmp_lt_i32_e64 s2, -1, v21
	s_and_b32 s0, s0, s1
	s_wait_alu 0xfffe
	s_and_b32 s0, s0, s2
	s_wait_alu 0xfffe
	s_and_saveexec_b32 s1, s0
	s_cbranch_execz .LBB33_17
; %bb.16:                               ;   in Loop: Header=BB33_14 Depth=2
	v_mad_co_u64_u32 v[7:8], null, v21, s15, v[9:10]
	v_mov_b32_e32 v8, v11
	s_delay_alu instid0(VALU_DEP_1) | instskip(NEXT) | instid1(VALU_DEP_1)
	v_lshlrev_b64_e32 v[7:8], 3, v[7:8]
	v_add_co_u32 v7, s0, v17, v7
	s_wait_alu 0xf1ff
	s_delay_alu instid0(VALU_DEP_2)
	v_add_co_ci_u32_e64 v8, null, v18, v8, s0
	global_load_b64 v[7:8], v[7:8], off
.LBB33_17:                              ;   in Loop: Header=BB33_14 Depth=2
	s_wait_alu 0xfffe
	s_or_b32 exec_lo, exec_lo, s1
.LBB33_18:                              ;   in Loop: Header=BB33_14 Depth=2
	s_wait_alu 0xfffe
	s_or_b32 exec_lo, exec_lo, s25
	v_add_nc_u32_e32 v19, 32, v19
	s_mov_b32 s1, exec_lo
	s_delay_alu instid0(VALU_DEP_1)
	v_cmpx_le_i32_e64 s19, v19
	s_cbranch_execz .LBB33_13
; %bb.19:                               ;   in Loop: Header=BB33_14 Depth=2
	s_mov_b32 s2, 0
.LBB33_20:                              ;   Parent Loop BB33_6 Depth=1
                                        ;     Parent Loop BB33_14 Depth=2
                                        ; =>    This Inner Loop Header: Depth=3
	v_subrev_nc_u32_e32 v19, s19, v19
	v_add_nc_u32_e32 v20, 1, v20
	s_delay_alu instid0(VALU_DEP_2)
	v_cmp_gt_i32_e64 s0, s19, v19
	s_wait_alu 0xfffe
	s_or_b32 s2, s0, s2
	s_wait_alu 0xfffe
	s_and_not1_b32 exec_lo, exec_lo, s2
	s_cbranch_execnz .LBB33_20
; %bb.21:                               ;   in Loop: Header=BB33_14 Depth=2
	s_or_b32 exec_lo, exec_lo, s2
	s_branch .LBB33_13
.LBB33_22:
	s_or_b32 exec_lo, exec_lo, s40
.LBB33_23:
	s_delay_alu instid0(SALU_CYCLE_1)
	s_or_b32 exec_lo, exec_lo, s39
	s_load_b64 s[0:1], s[28:29], 0x0
	v_lshl_add_u32 v3, v0, 3, 0
	s_bcnt1_i32_b32 s2, s37
	s_wait_alu 0xfffe
	s_cmp_lg_u32 s2, 1
	s_mov_b32 s2, -1
	ds_store_b64 v3, v[1:2]
	s_wait_dscnt 0x0
	s_barrier_signal -1
	s_barrier_wait -1
	global_inv scope:SCOPE_SE
	s_cbranch_scc1 .LBB33_32
; %bb.24:
	s_wait_alu 0xfffe
	s_and_not1_b32 vcc_lo, exec_lo, s2
	s_wait_alu 0xfffe
	s_cbranch_vccnz .LBB33_28
.LBB33_25:
	s_cmp_lt_u32 s37, 2
	s_cbranch_scc0 .LBB33_30
.LBB33_26:
	s_mov_b32 s2, exec_lo
	v_cmpx_eq_u32_e32 0, v0
	s_cbranch_execz .LBB33_28
; %bb.27:
	v_mov_b32_e32 v2, 0
	s_mul_i32 s2, s7, s27
	s_mul_i32 s4, s8, s36
	s_wait_alu 0xfffe
	s_ashr_i32 s3, s2, 31
	s_ashr_i32 s5, s4, 31
	ds_load_b64 v[0:1], v2
	s_wait_alu 0xfffe
	s_lshl_b64 s[2:3], s[2:3], 3
	s_wait_kmcnt 0x0
	s_wait_alu 0xfffe
	s_add_nc_u64 s[0:1], s[0:1], s[2:3]
	s_lshl_b64 s[2:3], s[4:5], 3
	s_mul_i32 s4, s9, s33
	s_wait_alu 0xfffe
	s_add_nc_u64 s[0:1], s[0:1], s[2:3]
	s_ashr_i32 s5, s4, 31
	s_mul_i32 s2, s10, s16
	s_wait_alu 0xfffe
	s_lshl_b64 s[4:5], s[4:5], 3
	s_ashr_i32 s3, s2, 31
	s_wait_alu 0xfffe
	s_add_nc_u64 s[0:1], s[0:1], s[4:5]
	s_lshl_b64 s[2:3], s[2:3], 3
	s_wait_alu 0xfffe
	s_add_nc_u64 s[0:1], s[0:1], s[2:3]
	s_wait_dscnt 0x0
	global_store_b64 v2, v[0:1], s[0:1]
.LBB33_28:
	s_endpgm
.LBB33_29:                              ;   in Loop: Header=BB33_30 Depth=1
	s_or_b32 exec_lo, exec_lo, s3
	s_cmp_lt_u32 s37, 4
	s_mov_b32 s37, s2
	s_wait_loadcnt_dscnt 0x0
	s_barrier_signal -1
	s_barrier_wait -1
	global_inv scope:SCOPE_SE
	s_cbranch_scc1 .LBB33_26
.LBB33_30:                              ; =>This Inner Loop Header: Depth=1
	s_lshr_b32 s2, s37, 1
	s_mov_b32 s3, exec_lo
	s_wait_alu 0xfffe
	v_cmpx_gt_u32_e64 s2, v0
	s_cbranch_execz .LBB33_29
; %bb.31:                               ;   in Loop: Header=BB33_30 Depth=1
	v_lshl_add_u32 v1, s2, 3, v3
	ds_load_b64 v[1:2], v1
	ds_load_b64 v[4:5], v3
	s_wait_dscnt 0x0
	v_add_f64_e32 v[1:2], v[1:2], v[4:5]
	ds_store_b64 v3, v[1:2]
	s_branch .LBB33_29
.LBB33_32:
	s_trap 2
	; divergent unreachable
	s_cbranch_execz .LBB33_25
	s_branch .LBB33_28
	.section	.rodata,"a",@progbits
	.p2align	6, 0x0
	.amdhsa_kernel _ZN2at6native12_GLOBAL__N_144conv_depthwise3d_cuda_backward_weight_kernelIddLi2ELi2EEEvN5torch10headeronly6detail27GenericPackedTensorAccessorINS5_14TensorAccessorIN3c108ArrayRefIlEEKT_Lm4ENS4_16DefaultPtrTraitsEiEENS_6detail16IndexBoundsCheckILm5EiEESC_Lm5ESD_iEESI_NS6_INS7_ISA_SB_Lm4ESD_iEESH_SB_Lm5ESD_iEEiiiiiiiii
		.amdhsa_group_segment_fixed_size 0
		.amdhsa_private_segment_fixed_size 0
		.amdhsa_kernarg_size 440
		.amdhsa_user_sgpr_count 2
		.amdhsa_user_sgpr_dispatch_ptr 0
		.amdhsa_user_sgpr_queue_ptr 0
		.amdhsa_user_sgpr_kernarg_segment_ptr 1
		.amdhsa_user_sgpr_dispatch_id 0
		.amdhsa_user_sgpr_private_segment_size 0
		.amdhsa_wavefront_size32 1
		.amdhsa_uses_dynamic_stack 0
		.amdhsa_enable_private_segment 0
		.amdhsa_system_sgpr_workgroup_id_x 1
		.amdhsa_system_sgpr_workgroup_id_y 0
		.amdhsa_system_sgpr_workgroup_id_z 0
		.amdhsa_system_sgpr_workgroup_info 0
		.amdhsa_system_vgpr_workitem_id 0
		.amdhsa_next_free_vgpr 22
		.amdhsa_next_free_sgpr 46
		.amdhsa_reserve_vcc 1
		.amdhsa_float_round_mode_32 0
		.amdhsa_float_round_mode_16_64 0
		.amdhsa_float_denorm_mode_32 3
		.amdhsa_float_denorm_mode_16_64 3
		.amdhsa_fp16_overflow 0
		.amdhsa_workgroup_processor_mode 1
		.amdhsa_memory_ordered 1
		.amdhsa_forward_progress 1
		.amdhsa_inst_pref_size 19
		.amdhsa_round_robin_scheduling 0
		.amdhsa_exception_fp_ieee_invalid_op 0
		.amdhsa_exception_fp_denorm_src 0
		.amdhsa_exception_fp_ieee_div_zero 0
		.amdhsa_exception_fp_ieee_overflow 0
		.amdhsa_exception_fp_ieee_underflow 0
		.amdhsa_exception_fp_ieee_inexact 0
		.amdhsa_exception_int_div_zero 0
	.end_amdhsa_kernel
	.section	.text._ZN2at6native12_GLOBAL__N_144conv_depthwise3d_cuda_backward_weight_kernelIddLi2ELi2EEEvN5torch10headeronly6detail27GenericPackedTensorAccessorINS5_14TensorAccessorIN3c108ArrayRefIlEEKT_Lm4ENS4_16DefaultPtrTraitsEiEENS_6detail16IndexBoundsCheckILm5EiEESC_Lm5ESD_iEESI_NS6_INS7_ISA_SB_Lm4ESD_iEESH_SB_Lm5ESD_iEEiiiiiiiii,"axG",@progbits,_ZN2at6native12_GLOBAL__N_144conv_depthwise3d_cuda_backward_weight_kernelIddLi2ELi2EEEvN5torch10headeronly6detail27GenericPackedTensorAccessorINS5_14TensorAccessorIN3c108ArrayRefIlEEKT_Lm4ENS4_16DefaultPtrTraitsEiEENS_6detail16IndexBoundsCheckILm5EiEESC_Lm5ESD_iEESI_NS6_INS7_ISA_SB_Lm4ESD_iEESH_SB_Lm5ESD_iEEiiiiiiiii,comdat
.Lfunc_end33:
	.size	_ZN2at6native12_GLOBAL__N_144conv_depthwise3d_cuda_backward_weight_kernelIddLi2ELi2EEEvN5torch10headeronly6detail27GenericPackedTensorAccessorINS5_14TensorAccessorIN3c108ArrayRefIlEEKT_Lm4ENS4_16DefaultPtrTraitsEiEENS_6detail16IndexBoundsCheckILm5EiEESC_Lm5ESD_iEESI_NS6_INS7_ISA_SB_Lm4ESD_iEESH_SB_Lm5ESD_iEEiiiiiiiii, .Lfunc_end33-_ZN2at6native12_GLOBAL__N_144conv_depthwise3d_cuda_backward_weight_kernelIddLi2ELi2EEEvN5torch10headeronly6detail27GenericPackedTensorAccessorINS5_14TensorAccessorIN3c108ArrayRefIlEEKT_Lm4ENS4_16DefaultPtrTraitsEiEENS_6detail16IndexBoundsCheckILm5EiEESC_Lm5ESD_iEESI_NS6_INS7_ISA_SB_Lm4ESD_iEESH_SB_Lm5ESD_iEEiiiiiiiii
                                        ; -- End function
	.set _ZN2at6native12_GLOBAL__N_144conv_depthwise3d_cuda_backward_weight_kernelIddLi2ELi2EEEvN5torch10headeronly6detail27GenericPackedTensorAccessorINS5_14TensorAccessorIN3c108ArrayRefIlEEKT_Lm4ENS4_16DefaultPtrTraitsEiEENS_6detail16IndexBoundsCheckILm5EiEESC_Lm5ESD_iEESI_NS6_INS7_ISA_SB_Lm4ESD_iEESH_SB_Lm5ESD_iEEiiiiiiiii.num_vgpr, 22
	.set _ZN2at6native12_GLOBAL__N_144conv_depthwise3d_cuda_backward_weight_kernelIddLi2ELi2EEEvN5torch10headeronly6detail27GenericPackedTensorAccessorINS5_14TensorAccessorIN3c108ArrayRefIlEEKT_Lm4ENS4_16DefaultPtrTraitsEiEENS_6detail16IndexBoundsCheckILm5EiEESC_Lm5ESD_iEESI_NS6_INS7_ISA_SB_Lm4ESD_iEESH_SB_Lm5ESD_iEEiiiiiiiii.num_agpr, 0
	.set _ZN2at6native12_GLOBAL__N_144conv_depthwise3d_cuda_backward_weight_kernelIddLi2ELi2EEEvN5torch10headeronly6detail27GenericPackedTensorAccessorINS5_14TensorAccessorIN3c108ArrayRefIlEEKT_Lm4ENS4_16DefaultPtrTraitsEiEENS_6detail16IndexBoundsCheckILm5EiEESC_Lm5ESD_iEESI_NS6_INS7_ISA_SB_Lm4ESD_iEESH_SB_Lm5ESD_iEEiiiiiiiii.numbered_sgpr, 46
	.set _ZN2at6native12_GLOBAL__N_144conv_depthwise3d_cuda_backward_weight_kernelIddLi2ELi2EEEvN5torch10headeronly6detail27GenericPackedTensorAccessorINS5_14TensorAccessorIN3c108ArrayRefIlEEKT_Lm4ENS4_16DefaultPtrTraitsEiEENS_6detail16IndexBoundsCheckILm5EiEESC_Lm5ESD_iEESI_NS6_INS7_ISA_SB_Lm4ESD_iEESH_SB_Lm5ESD_iEEiiiiiiiii.num_named_barrier, 0
	.set _ZN2at6native12_GLOBAL__N_144conv_depthwise3d_cuda_backward_weight_kernelIddLi2ELi2EEEvN5torch10headeronly6detail27GenericPackedTensorAccessorINS5_14TensorAccessorIN3c108ArrayRefIlEEKT_Lm4ENS4_16DefaultPtrTraitsEiEENS_6detail16IndexBoundsCheckILm5EiEESC_Lm5ESD_iEESI_NS6_INS7_ISA_SB_Lm4ESD_iEESH_SB_Lm5ESD_iEEiiiiiiiii.private_seg_size, 0
	.set _ZN2at6native12_GLOBAL__N_144conv_depthwise3d_cuda_backward_weight_kernelIddLi2ELi2EEEvN5torch10headeronly6detail27GenericPackedTensorAccessorINS5_14TensorAccessorIN3c108ArrayRefIlEEKT_Lm4ENS4_16DefaultPtrTraitsEiEENS_6detail16IndexBoundsCheckILm5EiEESC_Lm5ESD_iEESI_NS6_INS7_ISA_SB_Lm4ESD_iEESH_SB_Lm5ESD_iEEiiiiiiiii.uses_vcc, 1
	.set _ZN2at6native12_GLOBAL__N_144conv_depthwise3d_cuda_backward_weight_kernelIddLi2ELi2EEEvN5torch10headeronly6detail27GenericPackedTensorAccessorINS5_14TensorAccessorIN3c108ArrayRefIlEEKT_Lm4ENS4_16DefaultPtrTraitsEiEENS_6detail16IndexBoundsCheckILm5EiEESC_Lm5ESD_iEESI_NS6_INS7_ISA_SB_Lm4ESD_iEESH_SB_Lm5ESD_iEEiiiiiiiii.uses_flat_scratch, 0
	.set _ZN2at6native12_GLOBAL__N_144conv_depthwise3d_cuda_backward_weight_kernelIddLi2ELi2EEEvN5torch10headeronly6detail27GenericPackedTensorAccessorINS5_14TensorAccessorIN3c108ArrayRefIlEEKT_Lm4ENS4_16DefaultPtrTraitsEiEENS_6detail16IndexBoundsCheckILm5EiEESC_Lm5ESD_iEESI_NS6_INS7_ISA_SB_Lm4ESD_iEESH_SB_Lm5ESD_iEEiiiiiiiii.has_dyn_sized_stack, 0
	.set _ZN2at6native12_GLOBAL__N_144conv_depthwise3d_cuda_backward_weight_kernelIddLi2ELi2EEEvN5torch10headeronly6detail27GenericPackedTensorAccessorINS5_14TensorAccessorIN3c108ArrayRefIlEEKT_Lm4ENS4_16DefaultPtrTraitsEiEENS_6detail16IndexBoundsCheckILm5EiEESC_Lm5ESD_iEESI_NS6_INS7_ISA_SB_Lm4ESD_iEESH_SB_Lm5ESD_iEEiiiiiiiii.has_recursion, 0
	.set _ZN2at6native12_GLOBAL__N_144conv_depthwise3d_cuda_backward_weight_kernelIddLi2ELi2EEEvN5torch10headeronly6detail27GenericPackedTensorAccessorINS5_14TensorAccessorIN3c108ArrayRefIlEEKT_Lm4ENS4_16DefaultPtrTraitsEiEENS_6detail16IndexBoundsCheckILm5EiEESC_Lm5ESD_iEESI_NS6_INS7_ISA_SB_Lm4ESD_iEESH_SB_Lm5ESD_iEEiiiiiiiii.has_indirect_call, 0
	.section	.AMDGPU.csdata,"",@progbits
; Kernel info:
; codeLenInByte = 2356
; TotalNumSgprs: 48
; NumVgprs: 22
; ScratchSize: 0
; MemoryBound: 0
; FloatMode: 240
; IeeeMode: 1
; LDSByteSize: 0 bytes/workgroup (compile time only)
; SGPRBlocks: 0
; VGPRBlocks: 2
; NumSGPRsForWavesPerEU: 48
; NumVGPRsForWavesPerEU: 22
; Occupancy: 16
; WaveLimiterHint : 1
; COMPUTE_PGM_RSRC2:SCRATCH_EN: 0
; COMPUTE_PGM_RSRC2:USER_SGPR: 2
; COMPUTE_PGM_RSRC2:TRAP_HANDLER: 0
; COMPUTE_PGM_RSRC2:TGID_X_EN: 1
; COMPUTE_PGM_RSRC2:TGID_Y_EN: 0
; COMPUTE_PGM_RSRC2:TGID_Z_EN: 0
; COMPUTE_PGM_RSRC2:TIDIG_COMP_CNT: 0
	.section	.text._ZN2at6native12_GLOBAL__N_144conv_depthwise3d_cuda_backward_weight_kernelIddLin1ELin1EEEvN5torch10headeronly6detail27GenericPackedTensorAccessorINS5_14TensorAccessorIN3c108ArrayRefIlEEKT_Lm4ENS4_16DefaultPtrTraitsEiEENS_6detail16IndexBoundsCheckILm5EiEESC_Lm5ESD_iEESI_NS6_INS7_ISA_SB_Lm4ESD_iEESH_SB_Lm5ESD_iEEiiiiiiiii,"axG",@progbits,_ZN2at6native12_GLOBAL__N_144conv_depthwise3d_cuda_backward_weight_kernelIddLin1ELin1EEEvN5torch10headeronly6detail27GenericPackedTensorAccessorINS5_14TensorAccessorIN3c108ArrayRefIlEEKT_Lm4ENS4_16DefaultPtrTraitsEiEENS_6detail16IndexBoundsCheckILm5EiEESC_Lm5ESD_iEESI_NS6_INS7_ISA_SB_Lm4ESD_iEESH_SB_Lm5ESD_iEEiiiiiiiii,comdat
	.globl	_ZN2at6native12_GLOBAL__N_144conv_depthwise3d_cuda_backward_weight_kernelIddLin1ELin1EEEvN5torch10headeronly6detail27GenericPackedTensorAccessorINS5_14TensorAccessorIN3c108ArrayRefIlEEKT_Lm4ENS4_16DefaultPtrTraitsEiEENS_6detail16IndexBoundsCheckILm5EiEESC_Lm5ESD_iEESI_NS6_INS7_ISA_SB_Lm4ESD_iEESH_SB_Lm5ESD_iEEiiiiiiiii ; -- Begin function _ZN2at6native12_GLOBAL__N_144conv_depthwise3d_cuda_backward_weight_kernelIddLin1ELin1EEEvN5torch10headeronly6detail27GenericPackedTensorAccessorINS5_14TensorAccessorIN3c108ArrayRefIlEEKT_Lm4ENS4_16DefaultPtrTraitsEiEENS_6detail16IndexBoundsCheckILm5EiEESC_Lm5ESD_iEESI_NS6_INS7_ISA_SB_Lm4ESD_iEESH_SB_Lm5ESD_iEEiiiiiiiii
	.p2align	8
	.type	_ZN2at6native12_GLOBAL__N_144conv_depthwise3d_cuda_backward_weight_kernelIddLin1ELin1EEEvN5torch10headeronly6detail27GenericPackedTensorAccessorINS5_14TensorAccessorIN3c108ArrayRefIlEEKT_Lm4ENS4_16DefaultPtrTraitsEiEENS_6detail16IndexBoundsCheckILm5EiEESC_Lm5ESD_iEESI_NS6_INS7_ISA_SB_Lm4ESD_iEESH_SB_Lm5ESD_iEEiiiiiiiii,@function
_ZN2at6native12_GLOBAL__N_144conv_depthwise3d_cuda_backward_weight_kernelIddLin1ELin1EEEvN5torch10headeronly6detail27GenericPackedTensorAccessorINS5_14TensorAccessorIN3c108ArrayRefIlEEKT_Lm4ENS4_16DefaultPtrTraitsEiEENS_6detail16IndexBoundsCheckILm5EiEESC_Lm5ESD_iEESI_NS6_INS7_ISA_SB_Lm4ESD_iEESH_SB_Lm5ESD_iEEiiiiiiiii: ; @_ZN2at6native12_GLOBAL__N_144conv_depthwise3d_cuda_backward_weight_kernelIddLin1ELin1EEEvN5torch10headeronly6detail27GenericPackedTensorAccessorINS5_14TensorAccessorIN3c108ArrayRefIlEEKT_Lm4ENS4_16DefaultPtrTraitsEiEENS_6detail16IndexBoundsCheckILm5EiEESC_Lm5ESD_iEESI_NS6_INS7_ISA_SB_Lm4ESD_iEESH_SB_Lm5ESD_iEEiiiiiiiii
; %bb.0:
	s_clause 0x2
	s_load_b128 s[12:15], s[0:1], 0x70
	s_load_b128 s[16:19], s[0:1], 0x3c
	s_load_b128 s[20:23], s[0:1], 0xc
	s_wait_kmcnt 0x0
	s_cvt_f32_u32 s2, s14
	s_cvt_f32_u32 s3, s13
	s_sub_co_i32 s4, 0, s14
	s_delay_alu instid0(SALU_CYCLE_1) | instskip(NEXT) | instid1(TRANS32_DEP_1)
	v_rcp_iflag_f32_e32 v1, s2
	v_readfirstlane_b32 s2, v1
	v_rcp_iflag_f32_e32 v1, s3
	s_mul_f32 s2, s2, 0x4f7ffffe
	s_wait_alu 0xfffe
	s_delay_alu instid0(SALU_CYCLE_2) | instskip(NEXT) | instid1(TRANS32_DEP_1)
	s_cvt_u32_f32 s2, s2
	v_readfirstlane_b32 s5, v1
	s_wait_alu 0xfffe
	s_delay_alu instid0(SALU_CYCLE_1) | instskip(NEXT) | instid1(SALU_CYCLE_1)
	s_mul_i32 s4, s4, s2
	s_mul_hi_u32 s3, s2, s4
	s_mul_f32 s5, s5, 0x4f7ffffe
	s_wait_alu 0xfffe
	s_add_co_i32 s2, s2, s3
	s_cvt_f32_u32 s3, s12
	s_wait_alu 0xfffe
	s_mul_hi_u32 s2, ttmp9, s2
	s_wait_alu 0xfffe
	s_mul_i32 s4, s2, s14
	s_add_co_i32 s6, s2, 1
	s_sub_co_i32 s4, ttmp9, s4
	v_rcp_iflag_f32_e32 v1, s3
	s_sub_co_i32 s7, s4, s14
	s_cmp_ge_u32 s4, s14
	s_cselect_b32 s2, s6, s2
	s_cselect_b32 s4, s7, s4
	s_wait_alu 0xfffe
	s_add_co_i32 s6, s2, 1
	s_cmp_ge_u32 s4, s14
	s_cvt_u32_f32 s4, s5
	s_cselect_b32 s2, s6, s2
	s_sub_co_i32 s5, 0, s13
	s_delay_alu instid0(SALU_CYCLE_1) | instskip(NEXT) | instid1(SALU_CYCLE_1)
	s_mul_i32 s5, s5, s4
	s_mul_hi_u32 s3, s4, s5
	v_readfirstlane_b32 s5, v1
	s_wait_alu 0xfffe
	s_add_co_i32 s4, s4, s3
	s_delay_alu instid0(SALU_CYCLE_1)
	s_mul_hi_u32 s3, s2, s4
	s_wait_alu 0xfffe
	s_mul_i32 s4, s3, s13
	s_add_co_i32 s6, s3, 1
	s_sub_co_i32 s4, s2, s4
	s_mul_f32 s5, s5, 0x4f7ffffe
	s_sub_co_i32 s7, s4, s13
	s_cmp_ge_u32 s4, s13
	s_cselect_b32 s3, s6, s3
	s_cselect_b32 s4, s7, s4
	s_wait_alu 0xfffe
	s_add_co_i32 s6, s3, 1
	s_cmp_ge_u32 s4, s13
	s_cvt_u32_f32 s4, s5
	s_cselect_b32 s28, s6, s3
	s_sub_co_i32 s3, 0, s12
	s_wait_alu 0xfffe
	s_mul_i32 s3, s3, s4
	s_wait_alu 0xfffe
	s_mul_hi_u32 s3, s4, s3
	s_wait_alu 0xfffe
	s_add_co_i32 s4, s4, s3
	s_delay_alu instid0(SALU_CYCLE_1) | instskip(SKIP_4) | instid1(SALU_CYCLE_1)
	s_mul_hi_u32 s3, s28, s4
	s_wait_alu 0xfffe
	s_mul_i32 s4, s3, s12
	s_add_co_i32 s5, s3, 1
	s_sub_co_i32 s4, s28, s4
	s_sub_co_i32 s6, s4, s12
	s_cmp_ge_u32 s4, s12
	s_cselect_b32 s3, s5, s3
	s_cselect_b32 s4, s6, s4
	s_wait_alu 0xfffe
	s_add_co_i32 s5, s3, 1
	s_cmp_ge_u32 s4, s12
	s_cselect_b32 s31, s5, s3
	s_abs_i32 s3, s16
	s_abs_i32 s6, s20
	s_wait_alu 0xfffe
	s_cvt_f32_u32 s4, s3
	s_sub_co_i32 s5, 0, s3
	s_delay_alu instid0(SALU_CYCLE_2) | instskip(NEXT) | instid1(TRANS32_DEP_1)
	v_rcp_iflag_f32_e32 v1, s4
	v_readfirstlane_b32 s4, v1
	s_mul_f32 s4, s4, 0x4f7ffffe
	s_wait_alu 0xfffe
	s_delay_alu instid0(SALU_CYCLE_2) | instskip(SKIP_1) | instid1(SALU_CYCLE_2)
	s_cvt_u32_f32 s4, s4
	s_wait_alu 0xfffe
	s_mul_i32 s5, s5, s4
	s_wait_alu 0xfffe
	s_mul_hi_u32 s5, s4, s5
	s_wait_alu 0xfffe
	s_add_co_i32 s4, s4, s5
	s_xor_b32 s5, s20, s16
	s_wait_alu 0xfffe
	s_mul_hi_u32 s4, s6, s4
	s_ashr_i32 s5, s5, 31
	s_wait_alu 0xfffe
	s_mul_i32 s7, s4, s3
	s_delay_alu instid0(SALU_CYCLE_1)
	s_sub_co_i32 s6, s6, s7
	s_add_co_i32 s7, s4, 1
	s_sub_co_i32 s8, s6, s3
	s_cmp_ge_u32 s6, s3
	s_cselect_b32 s4, s7, s4
	s_cselect_b32 s6, s8, s6
	s_wait_alu 0xfffe
	s_add_co_i32 s7, s4, 1
	s_cmp_ge_u32 s6, s3
	s_cselect_b32 s3, s7, s4
	s_load_b32 s4, s[0:1], 0x68
	s_xor_b32 s3, s3, s5
	s_wait_alu 0xfffe
	s_sub_co_i32 s20, s3, s5
	s_delay_alu instid0(SALU_CYCLE_1) | instskip(NEXT) | instid1(SALU_CYCLE_1)
	s_abs_i32 s16, s20
	s_cvt_f32_u32 s3, s16
	s_wait_alu 0xfffe
	s_delay_alu instid0(SALU_CYCLE_2) | instskip(SKIP_3) | instid1(TRANS32_DEP_1)
	v_rcp_iflag_f32_e32 v1, s3
	s_mov_b32 s3, 0
	s_wait_kmcnt 0x0
	s_cmp_ge_i32 s31, s4
	v_readfirstlane_b32 s29, v1
	s_cbranch_scc1 .LBB34_28
; %bb.1:
	s_load_b32 s43, s[0:1], 0x38
	s_add_nc_u64 s[34:35], s[0:1], 0x60
	s_load_b32 s30, s[0:1], 0xc4
	s_clause 0x1
	s_load_b128 s[24:27], s[34:35], 0x44
	s_load_b256 s[4:11], s[34:35], 0x24
	v_mov_b32_e32 v1, 0
	v_lshrrev_b32_e32 v12, 5, v0
	v_mov_b32_e32 v2, 0
	s_mul_i32 s14, s2, s14
	s_mul_i32 s13, s28, s13
	;; [unrolled: 1-line block ×3, first 2 shown]
	s_sub_co_i32 s33, ttmp9, s14
	s_sub_co_i32 s40, s2, s13
	s_sub_co_i32 s41, s28, s12
	s_mov_b32 s44, exec_lo
	s_wait_kmcnt 0x0
	s_and_b32 s42, s30, 0xffff
	s_mul_i32 s43, s43, s21
	s_delay_alu instid0(SALU_CYCLE_1)
	v_cmpx_gt_i32_e64 s43, v12
	s_cbranch_execz .LBB34_23
; %bb.2:
	s_mul_f32 s2, s29, 0x4f7ffffe
	s_mul_i32 s25, s41, s25
	s_mov_b32 s45, 0
	v_mov_b32_e32 v13, 0
	s_wait_alu 0xfffe
	s_cvt_u32_f32 s12, s2
	s_sub_co_i32 s2, 0, s16
	s_wait_alu 0xfffe
	s_delay_alu instid0(SALU_CYCLE_1)
	s_mul_i32 s13, s2, s12
	s_abs_i32 s2, s31
	s_mul_hi_u32 s14, s12, s13
	s_mov_b32 s13, s3
	s_add_co_i32 s12, s12, s14
	s_ashr_i32 s14, s20, 31
	s_wait_alu 0xfffe
	s_mul_u64 s[12:13], s[2:3], s[12:13]
	s_ashr_i32 s12, s31, 31
	s_mul_i32 s20, s13, s16
	s_lshr_b32 s3, s42, 5
	s_sub_co_i32 s2, s2, s20
	s_xor_b32 s46, s12, s14
	s_add_co_i32 s12, s13, 1
	s_wait_alu 0xfffe
	s_sub_co_i32 s14, s2, s16
	s_cmp_ge_u32 s2, s16
	s_cselect_b32 s12, s12, s13
	s_cselect_b32 s2, s14, s2
	s_add_co_i32 s13, s12, 1
	s_wait_alu 0xfffe
	s_cmp_ge_u32 s2, s16
	s_cselect_b32 s16, s13, s12
	s_abs_i32 s20, s21
	s_abs_i32 s47, s23
	s_cvt_f32_u32 s2, s20
	s_sub_co_i32 s13, 0, s20
	s_cvt_f32_u32 s12, s47
	s_sub_co_i32 s14, 0, s47
	s_wait_alu 0xfffe
	v_rcp_iflag_f32_e32 v1, s2
	s_sub_co_i32 s10, s25, s10
	v_rcp_iflag_f32_e32 v2, s12
	s_delay_alu instid0(TRANS32_DEP_2) | instskip(NEXT) | instid1(TRANS32_DEP_1)
	v_readfirstlane_b32 s2, v1
	v_readfirstlane_b32 s12, v2
	s_mul_f32 s2, s2, 0x4f7ffffe
	s_mul_f32 s12, s12, 0x4f7ffffe
	s_wait_alu 0xfffe
	s_delay_alu instid0(SALU_CYCLE_1) | instskip(NEXT) | instid1(SALU_CYCLE_1)
	s_cvt_u32_f32 s2, s2
	s_cvt_u32_f32 s12, s12
	s_wait_alu 0xfffe
	s_delay_alu instid0(SALU_CYCLE_1)
	s_mul_i32 s13, s13, s2
	s_wait_alu 0xfffe
	s_mul_hi_u32 s13, s2, s13
	s_mul_i32 s14, s14, s12
	s_wait_alu 0xfffe
	s_add_co_i32 s2, s2, s13
	s_mul_hi_u32 s13, s12, s14
	s_wait_alu 0xfffe
	v_mul_hi_u32 v1, v12, s2
	s_add_co_i32 s12, s12, s13
	s_delay_alu instid0(VALU_DEP_1) | instskip(SKIP_1) | instid1(VALU_DEP_2)
	v_mul_lo_u32 v4, v1, s20
	v_add_nc_u32_e32 v6, 1, v1
	v_sub_nc_u32_e32 v4, v12, v4
	s_delay_alu instid0(VALU_DEP_1) | instskip(NEXT) | instid1(VALU_DEP_3)
	v_cmp_le_u32_e32 vcc_lo, s20, v4
	v_cndmask_b32_e32 v1, v1, v6, vcc_lo
	v_subrev_nc_u32_e32 v6, s20, v4
	s_delay_alu instid0(VALU_DEP_1) | instskip(SKIP_1) | instid1(VALU_DEP_1)
	v_dual_cndmask_b32 v4, v4, v6 :: v_dual_and_b32 v3, 31, v0
	s_wait_alu 0xfffe
	v_mul_hi_u32 v2, v3, s12
	v_lshlrev_b32_e32 v18, 3, v3
	s_clause 0x3
	s_load_b64 s[36:37], s[0:1], 0x0
	s_load_b96 s[12:14], s[0:1], 0x1c
	s_load_b64 s[38:39], s[0:1], 0x30
	s_load_b96 s[28:30], s[0:1], 0x4c
	v_cmp_le_u32_e32 vcc_lo, s20, v4
	s_ashr_i32 s1, s21, 31
	s_ashr_i32 s20, s23, 31
	v_mul_lo_u32 v5, v2, s47
	v_add_nc_u32_e32 v7, 1, v2
	s_delay_alu instid0(VALU_DEP_2) | instskip(NEXT) | instid1(VALU_DEP_1)
	v_sub_nc_u32_e32 v5, v3, v5
	v_cmp_le_u32_e64 s2, s47, v5
	s_wait_kmcnt 0x0
	s_mul_i32 s0, s13, s31
	s_xor_b32 s13, s16, s46
	s_wait_alu 0xfffe
	s_sub_co_i32 s13, s13, s46
	v_cndmask_b32_e64 v2, v2, v7, s2
	v_subrev_nc_u32_e32 v7, s47, v5
	s_wait_alu 0xfffe
	s_mul_i32 s46, s29, s13
	s_delay_alu instid0(VALU_DEP_1)
	v_cndmask_b32_e64 v5, v5, v7, s2
	v_add_nc_u32_e32 v7, 1, v2
	v_add_nc_u32_e32 v6, 1, v1
	s_mul_i32 s2, s33, s27
	s_wait_alu 0xfffe
	s_sub_co_i32 s16, s2, s24
	s_wait_alu 0xfffd
	v_cndmask_b32_e32 v4, v1, v6, vcc_lo
	v_cmp_le_u32_e32 vcc_lo, s47, v5
	s_ashr_i32 s47, s46, 31
	s_wait_alu 0xfffe
	s_lshl_b64 s[46:47], s[46:47], 3
	s_wait_alu 0xfffd
	v_cndmask_b32_e32 v5, v2, v7, vcc_lo
	v_mov_b32_e32 v1, 0
	v_xor_b32_e32 v4, s1, v4
	v_mov_b32_e32 v2, 0
	s_wait_alu 0xfffe
	s_add_nc_u64 s[38:39], s[38:39], s[46:47]
	v_xor_b32_e32 v5, s20, v5
	v_subrev_nc_u32_e32 v14, s1, v4
	s_ashr_i32 s1, s0, 31
	s_delay_alu instid0(VALU_DEP_2)
	v_subrev_nc_u32_e32 v15, s20, v5
	s_wait_alu 0xfffe
	s_lshl_b64 s[0:1], s[0:1], 3
	v_mul_lo_u32 v4, v14, s21
	s_wait_alu 0xfffe
	s_add_nc_u64 s[36:37], s[36:37], s[0:1]
	s_mul_i32 s0, s40, s26
	v_mul_lo_u32 v5, v15, s23
	s_wait_alu 0xfffe
	s_sub_co_i32 s20, s0, s11
	v_cmp_gt_i32_e32 vcc_lo, s22, v15
	v_sub_nc_u32_e32 v16, v12, v4
	s_delay_alu instid0(VALU_DEP_3)
	v_sub_nc_u32_e32 v17, v3, v5
	s_branch .LBB34_6
.LBB34_3:                               ;   in Loop: Header=BB34_6 Depth=1
	s_or_b32 exec_lo, exec_lo, s24
.LBB34_4:                               ;   in Loop: Header=BB34_6 Depth=1
	s_wait_alu 0xfffe
	s_or_b32 exec_lo, exec_lo, s13
.LBB34_5:                               ;   in Loop: Header=BB34_6 Depth=1
	s_wait_alu 0xfffe
	s_or_b32 exec_lo, exec_lo, s11
	v_add_nc_u32_e32 v12, s3, v12
	v_add_nc_u32_e32 v16, s3, v16
	s_delay_alu instid0(VALU_DEP_2) | instskip(SKIP_1) | instid1(SALU_CYCLE_1)
	v_cmp_le_i32_e64 s0, s43, v12
	s_or_b32 s45, s0, s45
	s_and_not1_b32 exec_lo, exec_lo, s45
	s_cbranch_execz .LBB34_22
.LBB34_6:                               ; =>This Loop Header: Depth=1
                                        ;     Child Loop BB34_8 Depth 2
                                        ;     Child Loop BB34_14 Depth 2
                                        ;       Child Loop BB34_20 Depth 3
	s_mov_b32 s1, exec_lo
	s_delay_alu instid0(VALU_DEP_2)
	v_cmpx_le_i32_e64 s21, v16
	s_cbranch_execz .LBB34_10
; %bb.7:                                ;   in Loop: Header=BB34_6 Depth=1
	s_mov_b32 s2, 0
.LBB34_8:                               ;   Parent Loop BB34_6 Depth=1
                                        ; =>  This Inner Loop Header: Depth=2
	v_subrev_nc_u32_e32 v16, s21, v16
	v_add_nc_u32_e32 v14, 1, v14
	s_delay_alu instid0(VALU_DEP_2)
	v_cmp_gt_i32_e64 s0, s21, v16
	s_wait_alu 0xfffe
	s_or_b32 s2, s0, s2
	s_wait_alu 0xfffe
	s_and_not1_b32 exec_lo, exec_lo, s2
	s_cbranch_execnz .LBB34_8
; %bb.9:                                ;   in Loop: Header=BB34_6 Depth=1
	s_or_b32 exec_lo, exec_lo, s2
.LBB34_10:                              ;   in Loop: Header=BB34_6 Depth=1
	s_wait_alu 0xfffe
	s_or_b32 exec_lo, exec_lo, s1
	v_mad_co_u64_u32 v[3:4], null, v16, s7, s[10:11]
	s_delay_alu instid0(VALU_DEP_1)
	v_cmp_lt_i32_e64 s0, -1, v3
	v_cmp_gt_i32_e64 s1, s17, v3
	s_and_b32 s0, s0, s1
	s_wait_alu 0xfffe
	s_and_saveexec_b32 s11, s0
	s_cbranch_execz .LBB34_5
; %bb.11:                               ;   in Loop: Header=BB34_6 Depth=1
	s_and_saveexec_b32 s13, vcc_lo
	s_cbranch_execz .LBB34_4
; %bb.12:                               ;   in Loop: Header=BB34_6 Depth=1
	v_mul_lo_u32 v4, s12, v14
	v_mul_lo_u32 v6, s28, v14
	;; [unrolled: 1-line block ×4, first 2 shown]
	v_dual_mov_b32 v21, v17 :: v_dual_mov_b32 v22, v15
	s_mov_b32 s24, 0
	v_ashrrev_i32_e32 v5, 31, v4
	v_ashrrev_i32_e32 v7, 31, v6
	;; [unrolled: 1-line block ×4, first 2 shown]
	s_delay_alu instid0(VALU_DEP_4) | instskip(NEXT) | instid1(VALU_DEP_4)
	v_lshlrev_b64_e32 v[3:4], 3, v[4:5]
	v_lshlrev_b64_e32 v[5:6], 3, v[6:7]
	s_delay_alu instid0(VALU_DEP_4) | instskip(NEXT) | instid1(VALU_DEP_4)
	v_lshlrev_b64_e32 v[7:8], 3, v[8:9]
	v_lshlrev_b64_e32 v[9:10], 3, v[10:11]
	s_delay_alu instid0(VALU_DEP_4)
	v_add_co_u32 v3, s0, s36, v3
	s_wait_alu 0xf1ff
	v_add_co_ci_u32_e64 v4, null, s37, v4, s0
	v_add_co_u32 v5, s0, s38, v5
	s_wait_alu 0xf1ff
	v_add_co_ci_u32_e64 v6, null, s39, v6, s0
	;; [unrolled: 3-line block ×5, first 2 shown]
	s_branch .LBB34_14
.LBB34_13:                              ;   in Loop: Header=BB34_14 Depth=2
	s_wait_alu 0xfffe
	s_or_b32 exec_lo, exec_lo, s1
	s_wait_loadcnt 0x0
	v_fma_f64 v[1:2], v[5:6], v[7:8], v[1:2]
	v_cmp_le_i32_e64 s0, s22, v22
	v_add_co_u32 v3, s1, 0x100, v3
	s_wait_alu 0xf1ff
	v_add_co_ci_u32_e64 v4, null, 0, v4, s1
	s_or_b32 s24, s0, s24
	s_delay_alu instid0(SALU_CYCLE_1)
	s_and_not1_b32 exec_lo, exec_lo, s24
	s_cbranch_execz .LBB34_3
.LBB34_14:                              ;   Parent Loop BB34_6 Depth=1
                                        ; =>  This Loop Header: Depth=2
                                        ;       Child Loop BB34_20 Depth 3
	global_load_b64 v[5:6], v[3:4], off
	v_mad_co_u64_u32 v[9:10], null, v21, s9, s[16:17]
	v_mov_b32_e32 v7, 0
	v_mov_b32_e32 v8, 0
	s_mov_b32 s25, exec_lo
	s_delay_alu instid0(VALU_DEP_3)
	v_cmpx_lt_i32_e32 -1, v9
	s_cbranch_execz .LBB34_18
; %bb.15:                               ;   in Loop: Header=BB34_14 Depth=2
	v_mad_co_u64_u32 v[10:11], null, v22, s8, s[20:21]
	v_cmp_gt_i32_e64 s0, s19, v9
	v_mov_b32_e32 v7, 0
	v_mov_b32_e32 v8, 0
	s_delay_alu instid0(VALU_DEP_4)
	v_cmp_gt_i32_e64 s1, s18, v10
	v_cmp_lt_i32_e64 s2, -1, v10
	s_and_b32 s0, s0, s1
	s_wait_alu 0xfffe
	s_and_b32 s0, s0, s2
	s_wait_alu 0xfffe
	s_and_saveexec_b32 s1, s0
	s_cbranch_execz .LBB34_17
; %bb.16:                               ;   in Loop: Header=BB34_14 Depth=2
	v_mad_co_u64_u32 v[7:8], null, v10, s19, v[9:10]
	v_mov_b32_e32 v8, v13
	s_delay_alu instid0(VALU_DEP_1) | instskip(NEXT) | instid1(VALU_DEP_1)
	v_lshlrev_b64_e32 v[7:8], 3, v[7:8]
	v_add_co_u32 v7, s0, v19, v7
	s_wait_alu 0xf1ff
	s_delay_alu instid0(VALU_DEP_2)
	v_add_co_ci_u32_e64 v8, null, v20, v8, s0
	global_load_b64 v[7:8], v[7:8], off
.LBB34_17:                              ;   in Loop: Header=BB34_14 Depth=2
	s_wait_alu 0xfffe
	s_or_b32 exec_lo, exec_lo, s1
.LBB34_18:                              ;   in Loop: Header=BB34_14 Depth=2
	s_delay_alu instid0(SALU_CYCLE_1) | instskip(SKIP_2) | instid1(VALU_DEP_1)
	s_or_b32 exec_lo, exec_lo, s25
	v_add_nc_u32_e32 v21, 32, v21
	s_mov_b32 s1, exec_lo
	v_cmpx_le_i32_e64 s23, v21
	s_cbranch_execz .LBB34_13
; %bb.19:                               ;   in Loop: Header=BB34_14 Depth=2
	s_mov_b32 s2, 0
.LBB34_20:                              ;   Parent Loop BB34_6 Depth=1
                                        ;     Parent Loop BB34_14 Depth=2
                                        ; =>    This Inner Loop Header: Depth=3
	v_subrev_nc_u32_e32 v21, s23, v21
	v_add_nc_u32_e32 v22, 1, v22
	s_delay_alu instid0(VALU_DEP_2)
	v_cmp_gt_i32_e64 s0, s23, v21
	s_wait_alu 0xfffe
	s_or_b32 s2, s0, s2
	s_wait_alu 0xfffe
	s_and_not1_b32 exec_lo, exec_lo, s2
	s_cbranch_execnz .LBB34_20
; %bb.21:                               ;   in Loop: Header=BB34_14 Depth=2
	s_or_b32 exec_lo, exec_lo, s2
	s_branch .LBB34_13
.LBB34_22:
	s_or_b32 exec_lo, exec_lo, s45
.LBB34_23:
	s_delay_alu instid0(SALU_CYCLE_1)
	s_or_b32 exec_lo, exec_lo, s44
	s_load_b64 s[0:1], s[34:35], 0x0
	v_lshl_add_u32 v3, v0, 3, 0
	s_bcnt1_i32_b32 s2, s42
	s_wait_alu 0xfffe
	s_cmp_lg_u32 s2, 1
	s_mov_b32 s2, -1
	ds_store_b64 v3, v[1:2]
	s_wait_dscnt 0x0
	s_barrier_signal -1
	s_barrier_wait -1
	global_inv scope:SCOPE_SE
	s_cbranch_scc1 .LBB34_32
; %bb.24:
	s_wait_alu 0xfffe
	s_and_not1_b32 vcc_lo, exec_lo, s2
	s_wait_alu 0xfffe
	s_cbranch_vccnz .LBB34_28
.LBB34_25:
	s_cmp_lt_u32 s42, 2
	s_cbranch_scc0 .LBB34_30
.LBB34_26:
	s_mov_b32 s2, exec_lo
	v_cmpx_eq_u32_e32 0, v0
	s_cbranch_execz .LBB34_28
; %bb.27:
	v_mov_b32_e32 v2, 0
	s_mul_i32 s2, s15, s31
	s_mul_i32 s8, s4, s41
	s_wait_alu 0xfffe
	s_ashr_i32 s3, s2, 31
	s_ashr_i32 s9, s8, 31
	ds_load_b64 v[0:1], v2
	s_wait_alu 0xfffe
	s_lshl_b64 s[2:3], s[2:3], 3
	s_mul_i32 s4, s5, s40
	s_wait_kmcnt 0x0
	s_wait_alu 0xfffe
	s_add_nc_u64 s[0:1], s[0:1], s[2:3]
	s_lshl_b64 s[2:3], s[8:9], 3
	s_ashr_i32 s5, s4, 31
	s_wait_alu 0xfffe
	s_add_nc_u64 s[0:1], s[0:1], s[2:3]
	s_mul_i32 s2, s6, s33
	s_lshl_b64 s[4:5], s[4:5], 3
	s_wait_alu 0xfffe
	s_ashr_i32 s3, s2, 31
	s_add_nc_u64 s[0:1], s[0:1], s[4:5]
	s_wait_alu 0xfffe
	s_lshl_b64 s[2:3], s[2:3], 3
	s_wait_alu 0xfffe
	s_add_nc_u64 s[0:1], s[0:1], s[2:3]
	s_wait_dscnt 0x0
	global_store_b64 v2, v[0:1], s[0:1]
.LBB34_28:
	s_endpgm
.LBB34_29:                              ;   in Loop: Header=BB34_30 Depth=1
	s_or_b32 exec_lo, exec_lo, s3
	s_cmp_lt_u32 s42, 4
	s_mov_b32 s42, s2
	s_wait_loadcnt_dscnt 0x0
	s_barrier_signal -1
	s_barrier_wait -1
	global_inv scope:SCOPE_SE
	s_cbranch_scc1 .LBB34_26
.LBB34_30:                              ; =>This Inner Loop Header: Depth=1
	s_wait_alu 0xfffe
	s_lshr_b32 s2, s42, 1
	s_mov_b32 s3, exec_lo
	s_wait_alu 0xfffe
	v_cmpx_gt_u32_e64 s2, v0
	s_cbranch_execz .LBB34_29
; %bb.31:                               ;   in Loop: Header=BB34_30 Depth=1
	v_lshl_add_u32 v1, s2, 3, v3
	ds_load_b64 v[1:2], v1
	ds_load_b64 v[4:5], v3
	s_wait_dscnt 0x0
	v_add_f64_e32 v[1:2], v[1:2], v[4:5]
	ds_store_b64 v3, v[1:2]
	s_branch .LBB34_29
.LBB34_32:
	s_trap 2
	; divergent unreachable
	s_cbranch_execz .LBB34_25
	s_branch .LBB34_28
	.section	.rodata,"a",@progbits
	.p2align	6, 0x0
	.amdhsa_kernel _ZN2at6native12_GLOBAL__N_144conv_depthwise3d_cuda_backward_weight_kernelIddLin1ELin1EEEvN5torch10headeronly6detail27GenericPackedTensorAccessorINS5_14TensorAccessorIN3c108ArrayRefIlEEKT_Lm4ENS4_16DefaultPtrTraitsEiEENS_6detail16IndexBoundsCheckILm5EiEESC_Lm5ESD_iEESI_NS6_INS7_ISA_SB_Lm4ESD_iEESH_SB_Lm5ESD_iEEiiiiiiiii
		.amdhsa_group_segment_fixed_size 0
		.amdhsa_private_segment_fixed_size 0
		.amdhsa_kernarg_size 440
		.amdhsa_user_sgpr_count 2
		.amdhsa_user_sgpr_dispatch_ptr 0
		.amdhsa_user_sgpr_queue_ptr 0
		.amdhsa_user_sgpr_kernarg_segment_ptr 1
		.amdhsa_user_sgpr_dispatch_id 0
		.amdhsa_user_sgpr_private_segment_size 0
		.amdhsa_wavefront_size32 1
		.amdhsa_uses_dynamic_stack 0
		.amdhsa_enable_private_segment 0
		.amdhsa_system_sgpr_workgroup_id_x 1
		.amdhsa_system_sgpr_workgroup_id_y 0
		.amdhsa_system_sgpr_workgroup_id_z 0
		.amdhsa_system_sgpr_workgroup_info 0
		.amdhsa_system_vgpr_workitem_id 0
		.amdhsa_next_free_vgpr 23
		.amdhsa_next_free_sgpr 48
		.amdhsa_reserve_vcc 1
		.amdhsa_float_round_mode_32 0
		.amdhsa_float_round_mode_16_64 0
		.amdhsa_float_denorm_mode_32 3
		.amdhsa_float_denorm_mode_16_64 3
		.amdhsa_fp16_overflow 0
		.amdhsa_workgroup_processor_mode 1
		.amdhsa_memory_ordered 1
		.amdhsa_forward_progress 1
		.amdhsa_inst_pref_size 19
		.amdhsa_round_robin_scheduling 0
		.amdhsa_exception_fp_ieee_invalid_op 0
		.amdhsa_exception_fp_denorm_src 0
		.amdhsa_exception_fp_ieee_div_zero 0
		.amdhsa_exception_fp_ieee_overflow 0
		.amdhsa_exception_fp_ieee_underflow 0
		.amdhsa_exception_fp_ieee_inexact 0
		.amdhsa_exception_int_div_zero 0
	.end_amdhsa_kernel
	.section	.text._ZN2at6native12_GLOBAL__N_144conv_depthwise3d_cuda_backward_weight_kernelIddLin1ELin1EEEvN5torch10headeronly6detail27GenericPackedTensorAccessorINS5_14TensorAccessorIN3c108ArrayRefIlEEKT_Lm4ENS4_16DefaultPtrTraitsEiEENS_6detail16IndexBoundsCheckILm5EiEESC_Lm5ESD_iEESI_NS6_INS7_ISA_SB_Lm4ESD_iEESH_SB_Lm5ESD_iEEiiiiiiiii,"axG",@progbits,_ZN2at6native12_GLOBAL__N_144conv_depthwise3d_cuda_backward_weight_kernelIddLin1ELin1EEEvN5torch10headeronly6detail27GenericPackedTensorAccessorINS5_14TensorAccessorIN3c108ArrayRefIlEEKT_Lm4ENS4_16DefaultPtrTraitsEiEENS_6detail16IndexBoundsCheckILm5EiEESC_Lm5ESD_iEESI_NS6_INS7_ISA_SB_Lm4ESD_iEESH_SB_Lm5ESD_iEEiiiiiiiii,comdat
.Lfunc_end34:
	.size	_ZN2at6native12_GLOBAL__N_144conv_depthwise3d_cuda_backward_weight_kernelIddLin1ELin1EEEvN5torch10headeronly6detail27GenericPackedTensorAccessorINS5_14TensorAccessorIN3c108ArrayRefIlEEKT_Lm4ENS4_16DefaultPtrTraitsEiEENS_6detail16IndexBoundsCheckILm5EiEESC_Lm5ESD_iEESI_NS6_INS7_ISA_SB_Lm4ESD_iEESH_SB_Lm5ESD_iEEiiiiiiiii, .Lfunc_end34-_ZN2at6native12_GLOBAL__N_144conv_depthwise3d_cuda_backward_weight_kernelIddLin1ELin1EEEvN5torch10headeronly6detail27GenericPackedTensorAccessorINS5_14TensorAccessorIN3c108ArrayRefIlEEKT_Lm4ENS4_16DefaultPtrTraitsEiEENS_6detail16IndexBoundsCheckILm5EiEESC_Lm5ESD_iEESI_NS6_INS7_ISA_SB_Lm4ESD_iEESH_SB_Lm5ESD_iEEiiiiiiiii
                                        ; -- End function
	.set _ZN2at6native12_GLOBAL__N_144conv_depthwise3d_cuda_backward_weight_kernelIddLin1ELin1EEEvN5torch10headeronly6detail27GenericPackedTensorAccessorINS5_14TensorAccessorIN3c108ArrayRefIlEEKT_Lm4ENS4_16DefaultPtrTraitsEiEENS_6detail16IndexBoundsCheckILm5EiEESC_Lm5ESD_iEESI_NS6_INS7_ISA_SB_Lm4ESD_iEESH_SB_Lm5ESD_iEEiiiiiiiii.num_vgpr, 23
	.set _ZN2at6native12_GLOBAL__N_144conv_depthwise3d_cuda_backward_weight_kernelIddLin1ELin1EEEvN5torch10headeronly6detail27GenericPackedTensorAccessorINS5_14TensorAccessorIN3c108ArrayRefIlEEKT_Lm4ENS4_16DefaultPtrTraitsEiEENS_6detail16IndexBoundsCheckILm5EiEESC_Lm5ESD_iEESI_NS6_INS7_ISA_SB_Lm4ESD_iEESH_SB_Lm5ESD_iEEiiiiiiiii.num_agpr, 0
	.set _ZN2at6native12_GLOBAL__N_144conv_depthwise3d_cuda_backward_weight_kernelIddLin1ELin1EEEvN5torch10headeronly6detail27GenericPackedTensorAccessorINS5_14TensorAccessorIN3c108ArrayRefIlEEKT_Lm4ENS4_16DefaultPtrTraitsEiEENS_6detail16IndexBoundsCheckILm5EiEESC_Lm5ESD_iEESI_NS6_INS7_ISA_SB_Lm4ESD_iEESH_SB_Lm5ESD_iEEiiiiiiiii.numbered_sgpr, 48
	.set _ZN2at6native12_GLOBAL__N_144conv_depthwise3d_cuda_backward_weight_kernelIddLin1ELin1EEEvN5torch10headeronly6detail27GenericPackedTensorAccessorINS5_14TensorAccessorIN3c108ArrayRefIlEEKT_Lm4ENS4_16DefaultPtrTraitsEiEENS_6detail16IndexBoundsCheckILm5EiEESC_Lm5ESD_iEESI_NS6_INS7_ISA_SB_Lm4ESD_iEESH_SB_Lm5ESD_iEEiiiiiiiii.num_named_barrier, 0
	.set _ZN2at6native12_GLOBAL__N_144conv_depthwise3d_cuda_backward_weight_kernelIddLin1ELin1EEEvN5torch10headeronly6detail27GenericPackedTensorAccessorINS5_14TensorAccessorIN3c108ArrayRefIlEEKT_Lm4ENS4_16DefaultPtrTraitsEiEENS_6detail16IndexBoundsCheckILm5EiEESC_Lm5ESD_iEESI_NS6_INS7_ISA_SB_Lm4ESD_iEESH_SB_Lm5ESD_iEEiiiiiiiii.private_seg_size, 0
	.set _ZN2at6native12_GLOBAL__N_144conv_depthwise3d_cuda_backward_weight_kernelIddLin1ELin1EEEvN5torch10headeronly6detail27GenericPackedTensorAccessorINS5_14TensorAccessorIN3c108ArrayRefIlEEKT_Lm4ENS4_16DefaultPtrTraitsEiEENS_6detail16IndexBoundsCheckILm5EiEESC_Lm5ESD_iEESI_NS6_INS7_ISA_SB_Lm4ESD_iEESH_SB_Lm5ESD_iEEiiiiiiiii.uses_vcc, 1
	.set _ZN2at6native12_GLOBAL__N_144conv_depthwise3d_cuda_backward_weight_kernelIddLin1ELin1EEEvN5torch10headeronly6detail27GenericPackedTensorAccessorINS5_14TensorAccessorIN3c108ArrayRefIlEEKT_Lm4ENS4_16DefaultPtrTraitsEiEENS_6detail16IndexBoundsCheckILm5EiEESC_Lm5ESD_iEESI_NS6_INS7_ISA_SB_Lm4ESD_iEESH_SB_Lm5ESD_iEEiiiiiiiii.uses_flat_scratch, 0
	.set _ZN2at6native12_GLOBAL__N_144conv_depthwise3d_cuda_backward_weight_kernelIddLin1ELin1EEEvN5torch10headeronly6detail27GenericPackedTensorAccessorINS5_14TensorAccessorIN3c108ArrayRefIlEEKT_Lm4ENS4_16DefaultPtrTraitsEiEENS_6detail16IndexBoundsCheckILm5EiEESC_Lm5ESD_iEESI_NS6_INS7_ISA_SB_Lm4ESD_iEESH_SB_Lm5ESD_iEEiiiiiiiii.has_dyn_sized_stack, 0
	.set _ZN2at6native12_GLOBAL__N_144conv_depthwise3d_cuda_backward_weight_kernelIddLin1ELin1EEEvN5torch10headeronly6detail27GenericPackedTensorAccessorINS5_14TensorAccessorIN3c108ArrayRefIlEEKT_Lm4ENS4_16DefaultPtrTraitsEiEENS_6detail16IndexBoundsCheckILm5EiEESC_Lm5ESD_iEESI_NS6_INS7_ISA_SB_Lm4ESD_iEESH_SB_Lm5ESD_iEEiiiiiiiii.has_recursion, 0
	.set _ZN2at6native12_GLOBAL__N_144conv_depthwise3d_cuda_backward_weight_kernelIddLin1ELin1EEEvN5torch10headeronly6detail27GenericPackedTensorAccessorINS5_14TensorAccessorIN3c108ArrayRefIlEEKT_Lm4ENS4_16DefaultPtrTraitsEiEENS_6detail16IndexBoundsCheckILm5EiEESC_Lm5ESD_iEESI_NS6_INS7_ISA_SB_Lm4ESD_iEESH_SB_Lm5ESD_iEEiiiiiiiii.has_indirect_call, 0
	.section	.AMDGPU.csdata,"",@progbits
; Kernel info:
; codeLenInByte = 2368
; TotalNumSgprs: 50
; NumVgprs: 23
; ScratchSize: 0
; MemoryBound: 0
; FloatMode: 240
; IeeeMode: 1
; LDSByteSize: 0 bytes/workgroup (compile time only)
; SGPRBlocks: 0
; VGPRBlocks: 2
; NumSGPRsForWavesPerEU: 50
; NumVGPRsForWavesPerEU: 23
; Occupancy: 16
; WaveLimiterHint : 1
; COMPUTE_PGM_RSRC2:SCRATCH_EN: 0
; COMPUTE_PGM_RSRC2:USER_SGPR: 2
; COMPUTE_PGM_RSRC2:TRAP_HANDLER: 0
; COMPUTE_PGM_RSRC2:TGID_X_EN: 1
; COMPUTE_PGM_RSRC2:TGID_Y_EN: 0
; COMPUTE_PGM_RSRC2:TGID_Z_EN: 0
; COMPUTE_PGM_RSRC2:TIDIG_COMP_CNT: 0
	.section	.text._ZN2at6native12_GLOBAL__N_144conv_depthwise3d_cuda_backward_weight_kernelIffLi1ELi1EEEvN5torch10headeronly6detail27GenericPackedTensorAccessorINS5_14TensorAccessorIN3c108ArrayRefIlEEKT_Lm4ENS4_16DefaultPtrTraitsEiEENS_6detail16IndexBoundsCheckILm5EiEESC_Lm5ESD_iEESI_NS6_INS7_ISA_SB_Lm4ESD_iEESH_SB_Lm5ESD_iEEiiiiiiiii,"axG",@progbits,_ZN2at6native12_GLOBAL__N_144conv_depthwise3d_cuda_backward_weight_kernelIffLi1ELi1EEEvN5torch10headeronly6detail27GenericPackedTensorAccessorINS5_14TensorAccessorIN3c108ArrayRefIlEEKT_Lm4ENS4_16DefaultPtrTraitsEiEENS_6detail16IndexBoundsCheckILm5EiEESC_Lm5ESD_iEESI_NS6_INS7_ISA_SB_Lm4ESD_iEESH_SB_Lm5ESD_iEEiiiiiiiii,comdat
	.globl	_ZN2at6native12_GLOBAL__N_144conv_depthwise3d_cuda_backward_weight_kernelIffLi1ELi1EEEvN5torch10headeronly6detail27GenericPackedTensorAccessorINS5_14TensorAccessorIN3c108ArrayRefIlEEKT_Lm4ENS4_16DefaultPtrTraitsEiEENS_6detail16IndexBoundsCheckILm5EiEESC_Lm5ESD_iEESI_NS6_INS7_ISA_SB_Lm4ESD_iEESH_SB_Lm5ESD_iEEiiiiiiiii ; -- Begin function _ZN2at6native12_GLOBAL__N_144conv_depthwise3d_cuda_backward_weight_kernelIffLi1ELi1EEEvN5torch10headeronly6detail27GenericPackedTensorAccessorINS5_14TensorAccessorIN3c108ArrayRefIlEEKT_Lm4ENS4_16DefaultPtrTraitsEiEENS_6detail16IndexBoundsCheckILm5EiEESC_Lm5ESD_iEESI_NS6_INS7_ISA_SB_Lm4ESD_iEESH_SB_Lm5ESD_iEEiiiiiiiii
	.p2align	8
	.type	_ZN2at6native12_GLOBAL__N_144conv_depthwise3d_cuda_backward_weight_kernelIffLi1ELi1EEEvN5torch10headeronly6detail27GenericPackedTensorAccessorINS5_14TensorAccessorIN3c108ArrayRefIlEEKT_Lm4ENS4_16DefaultPtrTraitsEiEENS_6detail16IndexBoundsCheckILm5EiEESC_Lm5ESD_iEESI_NS6_INS7_ISA_SB_Lm4ESD_iEESH_SB_Lm5ESD_iEEiiiiiiiii,@function
_ZN2at6native12_GLOBAL__N_144conv_depthwise3d_cuda_backward_weight_kernelIffLi1ELi1EEEvN5torch10headeronly6detail27GenericPackedTensorAccessorINS5_14TensorAccessorIN3c108ArrayRefIlEEKT_Lm4ENS4_16DefaultPtrTraitsEiEENS_6detail16IndexBoundsCheckILm5EiEESC_Lm5ESD_iEESI_NS6_INS7_ISA_SB_Lm4ESD_iEESH_SB_Lm5ESD_iEEiiiiiiiii: ; @_ZN2at6native12_GLOBAL__N_144conv_depthwise3d_cuda_backward_weight_kernelIffLi1ELi1EEEvN5torch10headeronly6detail27GenericPackedTensorAccessorINS5_14TensorAccessorIN3c108ArrayRefIlEEKT_Lm4ENS4_16DefaultPtrTraitsEiEENS_6detail16IndexBoundsCheckILm5EiEESC_Lm5ESD_iEESI_NS6_INS7_ISA_SB_Lm4ESD_iEESH_SB_Lm5ESD_iEEiiiiiiiii
; %bb.0:
	s_clause 0x2
	s_load_b128 s[4:7], s[0:1], 0x70
	s_load_b128 s[12:15], s[0:1], 0x3c
	;; [unrolled: 1-line block ×3, first 2 shown]
	s_wait_kmcnt 0x0
	s_cvt_f32_u32 s2, s6
	s_cvt_f32_u32 s3, s5
	s_sub_co_i32 s8, 0, s6
	s_delay_alu instid0(SALU_CYCLE_1) | instskip(NEXT) | instid1(TRANS32_DEP_1)
	v_rcp_iflag_f32_e32 v1, s2
	v_readfirstlane_b32 s2, v1
	v_rcp_iflag_f32_e32 v1, s3
	s_mul_f32 s2, s2, 0x4f7ffffe
	s_wait_alu 0xfffe
	s_delay_alu instid0(SALU_CYCLE_2) | instskip(NEXT) | instid1(TRANS32_DEP_1)
	s_cvt_u32_f32 s2, s2
	v_readfirstlane_b32 s9, v1
	s_wait_alu 0xfffe
	s_delay_alu instid0(SALU_CYCLE_1) | instskip(NEXT) | instid1(SALU_CYCLE_1)
	s_mul_i32 s8, s8, s2
	s_mul_hi_u32 s3, s2, s8
	s_mul_f32 s9, s9, 0x4f7ffffe
	s_wait_alu 0xfffe
	s_add_co_i32 s2, s2, s3
	s_cvt_f32_u32 s3, s4
	s_wait_alu 0xfffe
	s_mul_hi_u32 s2, ttmp9, s2
	s_wait_alu 0xfffe
	s_mul_i32 s8, s2, s6
	s_add_co_i32 s10, s2, 1
	s_sub_co_i32 s8, ttmp9, s8
	v_rcp_iflag_f32_e32 v1, s3
	s_sub_co_i32 s11, s8, s6
	s_cmp_ge_u32 s8, s6
	s_cselect_b32 s2, s10, s2
	s_cselect_b32 s8, s11, s8
	s_wait_alu 0xfffe
	s_add_co_i32 s10, s2, 1
	s_cmp_ge_u32 s8, s6
	s_cvt_u32_f32 s8, s9
	s_cselect_b32 s2, s10, s2
	s_sub_co_i32 s9, 0, s5
	s_delay_alu instid0(SALU_CYCLE_1) | instskip(NEXT) | instid1(SALU_CYCLE_1)
	s_mul_i32 s9, s9, s8
	s_mul_hi_u32 s3, s8, s9
	v_readfirstlane_b32 s9, v1
	s_wait_alu 0xfffe
	s_add_co_i32 s8, s8, s3
	s_delay_alu instid0(SALU_CYCLE_1)
	s_mul_hi_u32 s3, s2, s8
	s_wait_alu 0xfffe
	s_mul_i32 s8, s3, s5
	s_add_co_i32 s10, s3, 1
	s_sub_co_i32 s8, s2, s8
	s_mul_f32 s9, s9, 0x4f7ffffe
	s_sub_co_i32 s11, s8, s5
	s_cmp_ge_u32 s8, s5
	s_cselect_b32 s3, s10, s3
	s_cselect_b32 s8, s11, s8
	s_wait_alu 0xfffe
	s_add_co_i32 s10, s3, 1
	s_cmp_ge_u32 s8, s5
	s_cvt_u32_f32 s8, s9
	s_cselect_b32 s20, s10, s3
	s_sub_co_i32 s3, 0, s4
	s_wait_alu 0xfffe
	s_mul_i32 s3, s3, s8
	s_wait_alu 0xfffe
	s_mul_hi_u32 s3, s8, s3
	s_wait_alu 0xfffe
	s_add_co_i32 s8, s8, s3
	s_delay_alu instid0(SALU_CYCLE_1) | instskip(SKIP_4) | instid1(SALU_CYCLE_1)
	s_mul_hi_u32 s3, s20, s8
	s_wait_alu 0xfffe
	s_mul_i32 s8, s3, s4
	s_add_co_i32 s9, s3, 1
	s_sub_co_i32 s8, s20, s8
	s_sub_co_i32 s10, s8, s4
	s_cmp_ge_u32 s8, s4
	s_cselect_b32 s3, s9, s3
	s_cselect_b32 s8, s10, s8
	s_wait_alu 0xfffe
	s_add_co_i32 s9, s3, 1
	s_cmp_ge_u32 s8, s4
	s_cselect_b32 s27, s9, s3
	s_abs_i32 s3, s12
	s_abs_i32 s10, s16
	s_wait_alu 0xfffe
	s_cvt_f32_u32 s8, s3
	s_sub_co_i32 s9, 0, s3
	s_delay_alu instid0(SALU_CYCLE_2) | instskip(NEXT) | instid1(TRANS32_DEP_1)
	v_rcp_iflag_f32_e32 v1, s8
	v_readfirstlane_b32 s8, v1
	s_mul_f32 s8, s8, 0x4f7ffffe
	s_wait_alu 0xfffe
	s_delay_alu instid0(SALU_CYCLE_2) | instskip(SKIP_1) | instid1(SALU_CYCLE_2)
	s_cvt_u32_f32 s8, s8
	s_wait_alu 0xfffe
	s_mul_i32 s9, s9, s8
	s_wait_alu 0xfffe
	s_mul_hi_u32 s9, s8, s9
	s_wait_alu 0xfffe
	s_add_co_i32 s8, s8, s9
	s_xor_b32 s9, s16, s12
	s_wait_alu 0xfffe
	s_mul_hi_u32 s8, s10, s8
	s_ashr_i32 s9, s9, 31
	s_wait_alu 0xfffe
	s_mul_i32 s11, s8, s3
	s_delay_alu instid0(SALU_CYCLE_1)
	s_sub_co_i32 s10, s10, s11
	s_add_co_i32 s11, s8, 1
	s_sub_co_i32 s12, s10, s3
	s_cmp_ge_u32 s10, s3
	s_cselect_b32 s8, s11, s8
	s_cselect_b32 s10, s12, s10
	s_wait_alu 0xfffe
	s_add_co_i32 s11, s8, 1
	s_cmp_ge_u32 s10, s3
	s_cselect_b32 s3, s11, s8
	s_load_b32 s8, s[0:1], 0x68
	s_xor_b32 s3, s3, s9
	s_wait_alu 0xfffe
	s_sub_co_i32 s21, s3, s9
	s_delay_alu instid0(SALU_CYCLE_1) | instskip(NEXT) | instid1(SALU_CYCLE_1)
	s_abs_i32 s12, s21
	s_cvt_f32_u32 s3, s12
	s_wait_alu 0xfffe
	s_delay_alu instid0(SALU_CYCLE_2) | instskip(SKIP_3) | instid1(TRANS32_DEP_1)
	v_rcp_iflag_f32_e32 v1, s3
	s_mov_b32 s3, 0
	s_wait_kmcnt 0x0
	s_cmp_ge_i32 s27, s8
	v_readfirstlane_b32 s22, v1
	s_cbranch_scc1 .LBB35_28
; %bb.1:
	s_load_b32 s38, s[0:1], 0x38
	s_add_nc_u64 s[28:29], s[0:1], 0x60
	s_load_b32 s23, s[0:1], 0xc4
	s_load_b128 s[8:11], s[28:29], 0x24
	v_lshrrev_b32_e32 v4, 5, v0
	v_mov_b32_e32 v7, 0
	s_mul_i32 s6, s2, s6
	s_mul_i32 s5, s20, s5
	;; [unrolled: 1-line block ×3, first 2 shown]
	s_sub_co_i32 s16, ttmp9, s6
	s_sub_co_i32 s33, s2, s5
	s_sub_co_i32 s36, s20, s4
	s_mov_b32 s39, exec_lo
	s_wait_kmcnt 0x0
	s_mul_i32 s38, s38, s17
	s_and_b32 s37, s23, 0xffff
	v_cmpx_gt_i32_e64 s38, v4
	s_cbranch_execz .LBB35_23
; %bb.2:
	s_mul_f32 s2, s22, 0x4f7ffffe
	s_mov_b32 s40, 0
	s_wait_alu 0xfffe
	s_delay_alu instid0(SALU_CYCLE_1) | instskip(SKIP_2) | instid1(SALU_CYCLE_1)
	s_cvt_u32_f32 s4, s2
	s_sub_co_i32 s2, 0, s12
	s_wait_alu 0xfffe
	s_mul_i32 s5, s2, s4
	s_abs_i32 s2, s27
	s_mul_hi_u32 s6, s4, s5
	s_mov_b32 s5, s3
	s_add_co_i32 s4, s4, s6
	s_ashr_i32 s6, s21, 31
	s_wait_alu 0xfffe
	s_mul_u64 s[4:5], s[2:3], s[4:5]
	s_ashr_i32 s4, s27, 31
	s_mul_i32 s20, s5, s12
	s_lshr_b32 s3, s37, 5
	s_sub_co_i32 s2, s2, s20
	s_xor_b32 s41, s4, s6
	s_add_co_i32 s4, s5, 1
	s_wait_alu 0xfffe
	s_sub_co_i32 s6, s2, s12
	s_cmp_ge_u32 s2, s12
	s_cselect_b32 s4, s4, s5
	s_cselect_b32 s2, s6, s2
	s_add_co_i32 s5, s4, 1
	s_wait_alu 0xfffe
	s_cmp_ge_u32 s2, s12
	s_cselect_b32 s2, s5, s4
	s_abs_i32 s12, s17
	s_abs_i32 s44, s19
	s_cvt_f32_u32 s4, s12
	s_cvt_f32_u32 s5, s44
	s_sub_co_i32 s6, 0, s12
	s_sub_co_i32 s20, 0, s44
	v_rcp_iflag_f32_e32 v1, s4
	v_rcp_iflag_f32_e32 v2, s5
	s_delay_alu instid0(TRANS32_DEP_2) | instskip(NEXT) | instid1(TRANS32_DEP_1)
	v_readfirstlane_b32 s4, v1
	v_readfirstlane_b32 s5, v2
	s_mul_f32 s4, s4, 0x4f7ffffe
	s_mul_f32 s5, s5, 0x4f7ffffe
	s_wait_alu 0xfffe
	s_delay_alu instid0(SALU_CYCLE_1) | instskip(NEXT) | instid1(SALU_CYCLE_1)
	s_cvt_u32_f32 s4, s4
	s_cvt_u32_f32 s5, s5
	s_wait_alu 0xfffe
	s_delay_alu instid0(SALU_CYCLE_1) | instskip(NEXT) | instid1(SALU_CYCLE_1)
	s_mul_i32 s6, s6, s4
	s_mul_i32 s20, s20, s5
	s_mul_hi_u32 s6, s4, s6
	s_delay_alu instid0(SALU_CYCLE_1)
	s_add_co_i32 s4, s4, s6
	s_mul_hi_u32 s6, s5, s20
	s_wait_alu 0xfffe
	v_mul_hi_u32 v2, v4, s4
	v_mov_b32_e32 v5, 0
	s_add_co_i32 s5, s5, s6
	s_clause 0x1
	s_load_b128 s[20:23], s[0:1], 0x9c
	s_load_b64 s[42:43], s[0:1], 0xac
	s_delay_alu instid0(VALU_DEP_2) | instskip(SKIP_1) | instid1(VALU_DEP_2)
	v_mul_lo_u32 v6, v2, s12
	v_add_nc_u32_e32 v8, 1, v2
	v_sub_nc_u32_e32 v9, v4, v6
	s_delay_alu instid0(VALU_DEP_1) | instskip(SKIP_4) | instid1(VALU_DEP_1)
	v_cmp_le_u32_e32 vcc_lo, s12, v9
	s_wait_kmcnt 0x0
	s_mul_i32 s43, s16, s43
	v_cndmask_b32_e32 v2, v2, v8, vcc_lo
	v_subrev_nc_u32_e32 v8, s12, v9
	v_dual_cndmask_b32 v8, v9, v8 :: v_dual_add_nc_u32 v9, 1, v2
	s_delay_alu instid0(VALU_DEP_1) | instskip(SKIP_1) | instid1(VALU_DEP_2)
	v_cmp_le_u32_e32 vcc_lo, s12, v8
	s_wait_alu 0xfffd
	v_dual_cndmask_b32 v2, v2, v9 :: v_dual_and_b32 v1, 31, v0
	s_delay_alu instid0(VALU_DEP_1)
	v_mul_hi_u32 v3, v1, s5
	s_clause 0x3
	s_load_b64 s[30:31], s[0:1], 0x0
	s_load_b96 s[4:6], s[0:1], 0x1c
	s_load_b64 s[34:35], s[0:1], 0x30
	s_load_b96 s[24:26], s[0:1], 0x4c
	s_mul_i32 s1, s36, s23
	s_ashr_i32 s23, s19, 31
	s_sub_co_i32 s12, s1, s20
	s_xor_b32 s1, s2, s41
	v_mul_lo_u32 v7, v3, s44
	s_sub_co_i32 s2, s1, s41
	s_delay_alu instid0(VALU_DEP_1) | instskip(NEXT) | instid1(VALU_DEP_1)
	v_sub_nc_u32_e32 v7, v1, v7
	v_subrev_nc_u32_e32 v10, s44, v7
	v_cmp_le_u32_e64 s0, s44, v7
	s_delay_alu instid0(VALU_DEP_1) | instskip(NEXT) | instid1(VALU_DEP_1)
	v_cndmask_b32_e64 v7, v7, v10, s0
	v_cmp_le_u32_e32 vcc_lo, s44, v7
	v_add_nc_u32_e32 v6, 1, v3
	s_wait_kmcnt 0x0
	s_wait_alu 0xfffe
	s_mul_i32 s44, s25, s2
	v_mov_b32_e32 v7, 0
	s_wait_alu 0xfffe
	s_ashr_i32 s45, s44, 31
	v_cndmask_b32_e64 v3, v3, v6, s0
	s_mul_i32 s0, s5, s27
	s_ashr_i32 s5, s17, 31
	s_wait_alu 0xfffe
	s_ashr_i32 s1, s0, 31
	v_xor_b32_e32 v2, s5, v2
	v_add_nc_u32_e32 v10, 1, v3
	s_wait_alu 0xfffe
	s_lshl_b64 s[0:1], s[0:1], 2
	v_lshlrev_b32_e32 v6, 2, v1
	s_lshl_b64 s[44:45], s[44:45], 2
	v_subrev_nc_u32_e32 v8, s5, v2
	s_wait_alu 0xfffd
	v_cndmask_b32_e32 v3, v3, v10, vcc_lo
	s_wait_alu 0xfffe
	s_add_nc_u64 s[30:31], s[30:31], s[0:1]
	s_mul_i32 s0, s33, s42
	s_add_nc_u64 s[34:35], s[34:35], s[44:45]
	v_mul_lo_u32 v2, v8, s17
	v_xor_b32_e32 v3, s23, v3
	s_sub_co_i32 s5, s43, s22
	s_wait_alu 0xfffe
	s_sub_co_i32 s20, s0, s21
	s_delay_alu instid0(VALU_DEP_1) | instskip(NEXT) | instid1(VALU_DEP_3)
	v_subrev_nc_u32_e32 v9, s23, v3
	v_sub_nc_u32_e32 v10, v4, v2
	s_delay_alu instid0(VALU_DEP_2) | instskip(SKIP_1) | instid1(VALU_DEP_2)
	v_mul_lo_u32 v3, v9, s19
	v_cmp_gt_i32_e32 vcc_lo, s18, v9
	v_sub_nc_u32_e32 v11, v1, v3
	s_branch .LBB35_6
.LBB35_3:                               ;   in Loop: Header=BB35_6 Depth=1
	s_or_b32 exec_lo, exec_lo, s23
.LBB35_4:                               ;   in Loop: Header=BB35_6 Depth=1
	s_wait_alu 0xfffe
	s_or_b32 exec_lo, exec_lo, s22
.LBB35_5:                               ;   in Loop: Header=BB35_6 Depth=1
	s_wait_alu 0xfffe
	s_or_b32 exec_lo, exec_lo, s21
	v_add_nc_u32_e32 v4, s3, v4
	v_add_nc_u32_e32 v10, s3, v10
	s_delay_alu instid0(VALU_DEP_2) | instskip(SKIP_1) | instid1(SALU_CYCLE_1)
	v_cmp_le_i32_e64 s0, s38, v4
	s_or_b32 s40, s0, s40
	s_and_not1_b32 exec_lo, exec_lo, s40
	s_cbranch_execz .LBB35_22
.LBB35_6:                               ; =>This Loop Header: Depth=1
                                        ;     Child Loop BB35_8 Depth 2
                                        ;     Child Loop BB35_14 Depth 2
                                        ;       Child Loop BB35_20 Depth 3
	s_mov_b32 s1, exec_lo
	v_cmpx_le_i32_e64 s17, v10
	s_cbranch_execz .LBB35_10
; %bb.7:                                ;   in Loop: Header=BB35_6 Depth=1
	s_mov_b32 s2, 0
.LBB35_8:                               ;   Parent Loop BB35_6 Depth=1
                                        ; =>  This Inner Loop Header: Depth=2
	v_subrev_nc_u32_e32 v10, s17, v10
	v_add_nc_u32_e32 v8, 1, v8
	s_delay_alu instid0(VALU_DEP_2)
	v_cmp_gt_i32_e64 s0, s17, v10
	s_wait_alu 0xfffe
	s_or_b32 s2, s0, s2
	s_wait_alu 0xfffe
	s_and_not1_b32 exec_lo, exec_lo, s2
	s_cbranch_execnz .LBB35_8
; %bb.9:                                ;   in Loop: Header=BB35_6 Depth=1
	s_or_b32 exec_lo, exec_lo, s2
.LBB35_10:                              ;   in Loop: Header=BB35_6 Depth=1
	s_wait_alu 0xfffe
	s_or_b32 exec_lo, exec_lo, s1
	v_mad_co_u64_u32 v[1:2], null, v10, s11, s[12:13]
	s_delay_alu instid0(VALU_DEP_1)
	v_cmp_lt_i32_e64 s0, -1, v1
	v_cmp_gt_i32_e64 s1, s13, v1
	s_and_b32 s0, s0, s1
	s_wait_alu 0xfffe
	s_and_saveexec_b32 s21, s0
	s_cbranch_execz .LBB35_5
; %bb.11:                               ;   in Loop: Header=BB35_6 Depth=1
	s_and_saveexec_b32 s22, vcc_lo
	s_cbranch_execz .LBB35_4
; %bb.12:                               ;   in Loop: Header=BB35_6 Depth=1
	v_mul_lo_u32 v2, s4, v8
	v_mul_lo_u32 v12, s24, v8
	;; [unrolled: 1-line block ×4, first 2 shown]
	s_mov_b32 s23, 0
	s_delay_alu instid0(VALU_DEP_4) | instskip(NEXT) | instid1(VALU_DEP_4)
	v_ashrrev_i32_e32 v3, 31, v2
	v_ashrrev_i32_e32 v13, 31, v12
	s_delay_alu instid0(VALU_DEP_4) | instskip(NEXT) | instid1(VALU_DEP_4)
	v_ashrrev_i32_e32 v17, 31, v16
	v_ashrrev_i32_e32 v15, 31, v14
	s_delay_alu instid0(VALU_DEP_4) | instskip(NEXT) | instid1(VALU_DEP_4)
	v_lshlrev_b64_e32 v[1:2], 2, v[2:3]
	v_lshlrev_b64_e32 v[12:13], 2, v[12:13]
	s_delay_alu instid0(VALU_DEP_4) | instskip(NEXT) | instid1(VALU_DEP_4)
	v_lshlrev_b64_e32 v[16:17], 2, v[16:17]
	v_lshlrev_b64_e32 v[14:15], 2, v[14:15]
	s_delay_alu instid0(VALU_DEP_4)
	v_add_co_u32 v1, s0, s30, v1
	s_wait_alu 0xf1ff
	v_add_co_ci_u32_e64 v2, null, s31, v2, s0
	v_add_co_u32 v3, s0, s34, v12
	s_wait_alu 0xf1ff
	v_add_co_ci_u32_e64 v13, null, s35, v13, s0
	v_add_co_u32 v1, s0, v1, v16
	s_wait_alu 0xf1ff
	v_add_co_ci_u32_e64 v2, null, v2, v17, s0
	v_add_co_u32 v12, s0, v3, v14
	s_wait_alu 0xf1ff
	v_add_co_ci_u32_e64 v13, null, v13, v15, s0
	v_add_co_u32 v1, s0, v1, v6
	s_wait_alu 0xf1ff
	v_add_co_ci_u32_e64 v2, null, 0, v2, s0
	v_dual_mov_b32 v14, v11 :: v_dual_mov_b32 v15, v9
	s_branch .LBB35_14
.LBB35_13:                              ;   in Loop: Header=BB35_14 Depth=2
	s_wait_alu 0xfffe
	s_or_b32 exec_lo, exec_lo, s1
	v_cmp_le_i32_e64 s0, s18, v15
	v_add_co_u32 v1, s1, 0x80, v1
	s_wait_alu 0xf1ff
	v_add_co_ci_u32_e64 v2, null, 0, v2, s1
	s_wait_loadcnt 0x0
	v_fmac_f32_e32 v7, v16, v17
	s_or_b32 s23, s0, s23
	s_wait_alu 0xfffe
	s_and_not1_b32 exec_lo, exec_lo, s23
	s_cbranch_execz .LBB35_3
.LBB35_14:                              ;   Parent Loop BB35_6 Depth=1
                                        ; =>  This Loop Header: Depth=2
                                        ;       Child Loop BB35_20 Depth 3
	global_load_b32 v16, v[1:2], off
	v_add_nc_u32_e32 v3, s5, v14
	v_mov_b32_e32 v17, 0
	s_mov_b32 s25, exec_lo
	s_delay_alu instid0(VALU_DEP_2)
	v_cmpx_lt_i32_e32 -1, v3
	s_cbranch_execz .LBB35_18
; %bb.15:                               ;   in Loop: Header=BB35_14 Depth=2
	v_dual_mov_b32 v17, 0 :: v_dual_add_nc_u32 v18, s20, v15
	v_cmp_gt_i32_e64 s0, s15, v3
	s_delay_alu instid0(VALU_DEP_2)
	v_cmp_gt_i32_e64 s1, s14, v18
	v_cmp_lt_i32_e64 s2, -1, v18
	s_and_b32 s0, s0, s1
	s_wait_alu 0xfffe
	s_and_b32 s0, s0, s2
	s_wait_alu 0xfffe
	s_and_saveexec_b32 s1, s0
	s_cbranch_execz .LBB35_17
; %bb.16:                               ;   in Loop: Header=BB35_14 Depth=2
	v_mad_co_u64_u32 v[17:18], null, v18, s15, v[3:4]
	v_mov_b32_e32 v18, v5
	s_delay_alu instid0(VALU_DEP_1) | instskip(NEXT) | instid1(VALU_DEP_1)
	v_lshlrev_b64_e32 v[17:18], 2, v[17:18]
	v_add_co_u32 v17, s0, v12, v17
	s_wait_alu 0xf1ff
	s_delay_alu instid0(VALU_DEP_2)
	v_add_co_ci_u32_e64 v18, null, v13, v18, s0
	global_load_b32 v17, v[17:18], off
.LBB35_17:                              ;   in Loop: Header=BB35_14 Depth=2
	s_wait_alu 0xfffe
	s_or_b32 exec_lo, exec_lo, s1
.LBB35_18:                              ;   in Loop: Header=BB35_14 Depth=2
	s_wait_alu 0xfffe
	s_or_b32 exec_lo, exec_lo, s25
	v_add_nc_u32_e32 v14, 32, v14
	s_mov_b32 s1, exec_lo
	s_delay_alu instid0(VALU_DEP_1)
	v_cmpx_le_i32_e64 s19, v14
	s_cbranch_execz .LBB35_13
; %bb.19:                               ;   in Loop: Header=BB35_14 Depth=2
	s_mov_b32 s2, 0
.LBB35_20:                              ;   Parent Loop BB35_6 Depth=1
                                        ;     Parent Loop BB35_14 Depth=2
                                        ; =>    This Inner Loop Header: Depth=3
	v_subrev_nc_u32_e32 v14, s19, v14
	v_add_nc_u32_e32 v15, 1, v15
	s_delay_alu instid0(VALU_DEP_2)
	v_cmp_gt_i32_e64 s0, s19, v14
	s_wait_alu 0xfffe
	s_or_b32 s2, s0, s2
	s_wait_alu 0xfffe
	s_and_not1_b32 exec_lo, exec_lo, s2
	s_cbranch_execnz .LBB35_20
; %bb.21:                               ;   in Loop: Header=BB35_14 Depth=2
	s_or_b32 exec_lo, exec_lo, s2
	s_branch .LBB35_13
.LBB35_22:
	s_or_b32 exec_lo, exec_lo, s40
.LBB35_23:
	s_delay_alu instid0(SALU_CYCLE_1)
	s_or_b32 exec_lo, exec_lo, s39
	s_load_b64 s[0:1], s[28:29], 0x0
	v_lshl_add_u32 v1, v0, 2, 0
	s_bcnt1_i32_b32 s2, s37
	s_wait_alu 0xfffe
	s_cmp_lg_u32 s2, 1
	s_mov_b32 s2, -1
	ds_store_b32 v1, v7
	s_wait_dscnt 0x0
	s_barrier_signal -1
	s_barrier_wait -1
	global_inv scope:SCOPE_SE
	s_cbranch_scc1 .LBB35_32
; %bb.24:
	s_wait_alu 0xfffe
	s_and_not1_b32 vcc_lo, exec_lo, s2
	s_wait_alu 0xfffe
	s_cbranch_vccnz .LBB35_28
.LBB35_25:
	s_cmp_lt_u32 s37, 2
	s_cbranch_scc0 .LBB35_30
.LBB35_26:
	s_mov_b32 s2, exec_lo
	v_cmpx_eq_u32_e32 0, v0
	s_cbranch_execz .LBB35_28
; %bb.27:
	v_mov_b32_e32 v0, 0
	s_mul_i32 s2, s7, s27
	s_mul_i32 s4, s8, s36
	s_wait_alu 0xfffe
	s_ashr_i32 s3, s2, 31
	s_ashr_i32 s5, s4, 31
	ds_load_b32 v1, v0
	s_wait_alu 0xfffe
	s_lshl_b64 s[2:3], s[2:3], 2
	s_wait_kmcnt 0x0
	s_wait_alu 0xfffe
	s_add_nc_u64 s[0:1], s[0:1], s[2:3]
	s_lshl_b64 s[2:3], s[4:5], 2
	s_mul_i32 s4, s9, s33
	s_wait_alu 0xfffe
	s_add_nc_u64 s[0:1], s[0:1], s[2:3]
	s_ashr_i32 s5, s4, 31
	s_mul_i32 s2, s10, s16
	s_wait_alu 0xfffe
	s_lshl_b64 s[4:5], s[4:5], 2
	s_ashr_i32 s3, s2, 31
	s_wait_alu 0xfffe
	s_add_nc_u64 s[0:1], s[0:1], s[4:5]
	s_lshl_b64 s[2:3], s[2:3], 2
	s_wait_alu 0xfffe
	s_add_nc_u64 s[0:1], s[0:1], s[2:3]
	s_wait_dscnt 0x0
	global_store_b32 v0, v1, s[0:1]
.LBB35_28:
	s_endpgm
.LBB35_29:                              ;   in Loop: Header=BB35_30 Depth=1
	s_or_b32 exec_lo, exec_lo, s3
	s_cmp_lt_u32 s37, 4
	s_mov_b32 s37, s2
	s_wait_loadcnt_dscnt 0x0
	s_barrier_signal -1
	s_barrier_wait -1
	global_inv scope:SCOPE_SE
	s_cbranch_scc1 .LBB35_26
.LBB35_30:                              ; =>This Inner Loop Header: Depth=1
	s_lshr_b32 s2, s37, 1
	s_mov_b32 s3, exec_lo
	s_wait_alu 0xfffe
	v_cmpx_gt_u32_e64 s2, v0
	s_cbranch_execz .LBB35_29
; %bb.31:                               ;   in Loop: Header=BB35_30 Depth=1
	v_lshl_add_u32 v2, s2, 2, v1
	ds_load_b32 v2, v2
	ds_load_b32 v3, v1
	s_wait_dscnt 0x0
	v_add_f32_e32 v2, v2, v3
	ds_store_b32 v1, v2
	s_branch .LBB35_29
.LBB35_32:
	s_trap 2
	; divergent unreachable
	s_cbranch_execz .LBB35_25
	s_branch .LBB35_28
	.section	.rodata,"a",@progbits
	.p2align	6, 0x0
	.amdhsa_kernel _ZN2at6native12_GLOBAL__N_144conv_depthwise3d_cuda_backward_weight_kernelIffLi1ELi1EEEvN5torch10headeronly6detail27GenericPackedTensorAccessorINS5_14TensorAccessorIN3c108ArrayRefIlEEKT_Lm4ENS4_16DefaultPtrTraitsEiEENS_6detail16IndexBoundsCheckILm5EiEESC_Lm5ESD_iEESI_NS6_INS7_ISA_SB_Lm4ESD_iEESH_SB_Lm5ESD_iEEiiiiiiiii
		.amdhsa_group_segment_fixed_size 0
		.amdhsa_private_segment_fixed_size 0
		.amdhsa_kernarg_size 440
		.amdhsa_user_sgpr_count 2
		.amdhsa_user_sgpr_dispatch_ptr 0
		.amdhsa_user_sgpr_queue_ptr 0
		.amdhsa_user_sgpr_kernarg_segment_ptr 1
		.amdhsa_user_sgpr_dispatch_id 0
		.amdhsa_user_sgpr_private_segment_size 0
		.amdhsa_wavefront_size32 1
		.amdhsa_uses_dynamic_stack 0
		.amdhsa_enable_private_segment 0
		.amdhsa_system_sgpr_workgroup_id_x 1
		.amdhsa_system_sgpr_workgroup_id_y 0
		.amdhsa_system_sgpr_workgroup_id_z 0
		.amdhsa_system_sgpr_workgroup_info 0
		.amdhsa_system_vgpr_workitem_id 0
		.amdhsa_next_free_vgpr 19
		.amdhsa_next_free_sgpr 46
		.amdhsa_reserve_vcc 1
		.amdhsa_float_round_mode_32 0
		.amdhsa_float_round_mode_16_64 0
		.amdhsa_float_denorm_mode_32 3
		.amdhsa_float_denorm_mode_16_64 3
		.amdhsa_fp16_overflow 0
		.amdhsa_workgroup_processor_mode 1
		.amdhsa_memory_ordered 1
		.amdhsa_forward_progress 1
		.amdhsa_inst_pref_size 19
		.amdhsa_round_robin_scheduling 0
		.amdhsa_exception_fp_ieee_invalid_op 0
		.amdhsa_exception_fp_denorm_src 0
		.amdhsa_exception_fp_ieee_div_zero 0
		.amdhsa_exception_fp_ieee_overflow 0
		.amdhsa_exception_fp_ieee_underflow 0
		.amdhsa_exception_fp_ieee_inexact 0
		.amdhsa_exception_int_div_zero 0
	.end_amdhsa_kernel
	.section	.text._ZN2at6native12_GLOBAL__N_144conv_depthwise3d_cuda_backward_weight_kernelIffLi1ELi1EEEvN5torch10headeronly6detail27GenericPackedTensorAccessorINS5_14TensorAccessorIN3c108ArrayRefIlEEKT_Lm4ENS4_16DefaultPtrTraitsEiEENS_6detail16IndexBoundsCheckILm5EiEESC_Lm5ESD_iEESI_NS6_INS7_ISA_SB_Lm4ESD_iEESH_SB_Lm5ESD_iEEiiiiiiiii,"axG",@progbits,_ZN2at6native12_GLOBAL__N_144conv_depthwise3d_cuda_backward_weight_kernelIffLi1ELi1EEEvN5torch10headeronly6detail27GenericPackedTensorAccessorINS5_14TensorAccessorIN3c108ArrayRefIlEEKT_Lm4ENS4_16DefaultPtrTraitsEiEENS_6detail16IndexBoundsCheckILm5EiEESC_Lm5ESD_iEESI_NS6_INS7_ISA_SB_Lm4ESD_iEESH_SB_Lm5ESD_iEEiiiiiiiii,comdat
.Lfunc_end35:
	.size	_ZN2at6native12_GLOBAL__N_144conv_depthwise3d_cuda_backward_weight_kernelIffLi1ELi1EEEvN5torch10headeronly6detail27GenericPackedTensorAccessorINS5_14TensorAccessorIN3c108ArrayRefIlEEKT_Lm4ENS4_16DefaultPtrTraitsEiEENS_6detail16IndexBoundsCheckILm5EiEESC_Lm5ESD_iEESI_NS6_INS7_ISA_SB_Lm4ESD_iEESH_SB_Lm5ESD_iEEiiiiiiiii, .Lfunc_end35-_ZN2at6native12_GLOBAL__N_144conv_depthwise3d_cuda_backward_weight_kernelIffLi1ELi1EEEvN5torch10headeronly6detail27GenericPackedTensorAccessorINS5_14TensorAccessorIN3c108ArrayRefIlEEKT_Lm4ENS4_16DefaultPtrTraitsEiEENS_6detail16IndexBoundsCheckILm5EiEESC_Lm5ESD_iEESI_NS6_INS7_ISA_SB_Lm4ESD_iEESH_SB_Lm5ESD_iEEiiiiiiiii
                                        ; -- End function
	.set _ZN2at6native12_GLOBAL__N_144conv_depthwise3d_cuda_backward_weight_kernelIffLi1ELi1EEEvN5torch10headeronly6detail27GenericPackedTensorAccessorINS5_14TensorAccessorIN3c108ArrayRefIlEEKT_Lm4ENS4_16DefaultPtrTraitsEiEENS_6detail16IndexBoundsCheckILm5EiEESC_Lm5ESD_iEESI_NS6_INS7_ISA_SB_Lm4ESD_iEESH_SB_Lm5ESD_iEEiiiiiiiii.num_vgpr, 19
	.set _ZN2at6native12_GLOBAL__N_144conv_depthwise3d_cuda_backward_weight_kernelIffLi1ELi1EEEvN5torch10headeronly6detail27GenericPackedTensorAccessorINS5_14TensorAccessorIN3c108ArrayRefIlEEKT_Lm4ENS4_16DefaultPtrTraitsEiEENS_6detail16IndexBoundsCheckILm5EiEESC_Lm5ESD_iEESI_NS6_INS7_ISA_SB_Lm4ESD_iEESH_SB_Lm5ESD_iEEiiiiiiiii.num_agpr, 0
	.set _ZN2at6native12_GLOBAL__N_144conv_depthwise3d_cuda_backward_weight_kernelIffLi1ELi1EEEvN5torch10headeronly6detail27GenericPackedTensorAccessorINS5_14TensorAccessorIN3c108ArrayRefIlEEKT_Lm4ENS4_16DefaultPtrTraitsEiEENS_6detail16IndexBoundsCheckILm5EiEESC_Lm5ESD_iEESI_NS6_INS7_ISA_SB_Lm4ESD_iEESH_SB_Lm5ESD_iEEiiiiiiiii.numbered_sgpr, 46
	.set _ZN2at6native12_GLOBAL__N_144conv_depthwise3d_cuda_backward_weight_kernelIffLi1ELi1EEEvN5torch10headeronly6detail27GenericPackedTensorAccessorINS5_14TensorAccessorIN3c108ArrayRefIlEEKT_Lm4ENS4_16DefaultPtrTraitsEiEENS_6detail16IndexBoundsCheckILm5EiEESC_Lm5ESD_iEESI_NS6_INS7_ISA_SB_Lm4ESD_iEESH_SB_Lm5ESD_iEEiiiiiiiii.num_named_barrier, 0
	.set _ZN2at6native12_GLOBAL__N_144conv_depthwise3d_cuda_backward_weight_kernelIffLi1ELi1EEEvN5torch10headeronly6detail27GenericPackedTensorAccessorINS5_14TensorAccessorIN3c108ArrayRefIlEEKT_Lm4ENS4_16DefaultPtrTraitsEiEENS_6detail16IndexBoundsCheckILm5EiEESC_Lm5ESD_iEESI_NS6_INS7_ISA_SB_Lm4ESD_iEESH_SB_Lm5ESD_iEEiiiiiiiii.private_seg_size, 0
	.set _ZN2at6native12_GLOBAL__N_144conv_depthwise3d_cuda_backward_weight_kernelIffLi1ELi1EEEvN5torch10headeronly6detail27GenericPackedTensorAccessorINS5_14TensorAccessorIN3c108ArrayRefIlEEKT_Lm4ENS4_16DefaultPtrTraitsEiEENS_6detail16IndexBoundsCheckILm5EiEESC_Lm5ESD_iEESI_NS6_INS7_ISA_SB_Lm4ESD_iEESH_SB_Lm5ESD_iEEiiiiiiiii.uses_vcc, 1
	.set _ZN2at6native12_GLOBAL__N_144conv_depthwise3d_cuda_backward_weight_kernelIffLi1ELi1EEEvN5torch10headeronly6detail27GenericPackedTensorAccessorINS5_14TensorAccessorIN3c108ArrayRefIlEEKT_Lm4ENS4_16DefaultPtrTraitsEiEENS_6detail16IndexBoundsCheckILm5EiEESC_Lm5ESD_iEESI_NS6_INS7_ISA_SB_Lm4ESD_iEESH_SB_Lm5ESD_iEEiiiiiiiii.uses_flat_scratch, 0
	.set _ZN2at6native12_GLOBAL__N_144conv_depthwise3d_cuda_backward_weight_kernelIffLi1ELi1EEEvN5torch10headeronly6detail27GenericPackedTensorAccessorINS5_14TensorAccessorIN3c108ArrayRefIlEEKT_Lm4ENS4_16DefaultPtrTraitsEiEENS_6detail16IndexBoundsCheckILm5EiEESC_Lm5ESD_iEESI_NS6_INS7_ISA_SB_Lm4ESD_iEESH_SB_Lm5ESD_iEEiiiiiiiii.has_dyn_sized_stack, 0
	.set _ZN2at6native12_GLOBAL__N_144conv_depthwise3d_cuda_backward_weight_kernelIffLi1ELi1EEEvN5torch10headeronly6detail27GenericPackedTensorAccessorINS5_14TensorAccessorIN3c108ArrayRefIlEEKT_Lm4ENS4_16DefaultPtrTraitsEiEENS_6detail16IndexBoundsCheckILm5EiEESC_Lm5ESD_iEESI_NS6_INS7_ISA_SB_Lm4ESD_iEESH_SB_Lm5ESD_iEEiiiiiiiii.has_recursion, 0
	.set _ZN2at6native12_GLOBAL__N_144conv_depthwise3d_cuda_backward_weight_kernelIffLi1ELi1EEEvN5torch10headeronly6detail27GenericPackedTensorAccessorINS5_14TensorAccessorIN3c108ArrayRefIlEEKT_Lm4ENS4_16DefaultPtrTraitsEiEENS_6detail16IndexBoundsCheckILm5EiEESC_Lm5ESD_iEESI_NS6_INS7_ISA_SB_Lm4ESD_iEESH_SB_Lm5ESD_iEEiiiiiiiii.has_indirect_call, 0
	.section	.AMDGPU.csdata,"",@progbits
; Kernel info:
; codeLenInByte = 2336
; TotalNumSgprs: 48
; NumVgprs: 19
; ScratchSize: 0
; MemoryBound: 0
; FloatMode: 240
; IeeeMode: 1
; LDSByteSize: 0 bytes/workgroup (compile time only)
; SGPRBlocks: 0
; VGPRBlocks: 2
; NumSGPRsForWavesPerEU: 48
; NumVGPRsForWavesPerEU: 19
; Occupancy: 16
; WaveLimiterHint : 1
; COMPUTE_PGM_RSRC2:SCRATCH_EN: 0
; COMPUTE_PGM_RSRC2:USER_SGPR: 2
; COMPUTE_PGM_RSRC2:TRAP_HANDLER: 0
; COMPUTE_PGM_RSRC2:TGID_X_EN: 1
; COMPUTE_PGM_RSRC2:TGID_Y_EN: 0
; COMPUTE_PGM_RSRC2:TGID_Z_EN: 0
; COMPUTE_PGM_RSRC2:TIDIG_COMP_CNT: 0
	.section	.text._ZN2at6native12_GLOBAL__N_144conv_depthwise3d_cuda_backward_weight_kernelIffLi2ELi2EEEvN5torch10headeronly6detail27GenericPackedTensorAccessorINS5_14TensorAccessorIN3c108ArrayRefIlEEKT_Lm4ENS4_16DefaultPtrTraitsEiEENS_6detail16IndexBoundsCheckILm5EiEESC_Lm5ESD_iEESI_NS6_INS7_ISA_SB_Lm4ESD_iEESH_SB_Lm5ESD_iEEiiiiiiiii,"axG",@progbits,_ZN2at6native12_GLOBAL__N_144conv_depthwise3d_cuda_backward_weight_kernelIffLi2ELi2EEEvN5torch10headeronly6detail27GenericPackedTensorAccessorINS5_14TensorAccessorIN3c108ArrayRefIlEEKT_Lm4ENS4_16DefaultPtrTraitsEiEENS_6detail16IndexBoundsCheckILm5EiEESC_Lm5ESD_iEESI_NS6_INS7_ISA_SB_Lm4ESD_iEESH_SB_Lm5ESD_iEEiiiiiiiii,comdat
	.globl	_ZN2at6native12_GLOBAL__N_144conv_depthwise3d_cuda_backward_weight_kernelIffLi2ELi2EEEvN5torch10headeronly6detail27GenericPackedTensorAccessorINS5_14TensorAccessorIN3c108ArrayRefIlEEKT_Lm4ENS4_16DefaultPtrTraitsEiEENS_6detail16IndexBoundsCheckILm5EiEESC_Lm5ESD_iEESI_NS6_INS7_ISA_SB_Lm4ESD_iEESH_SB_Lm5ESD_iEEiiiiiiiii ; -- Begin function _ZN2at6native12_GLOBAL__N_144conv_depthwise3d_cuda_backward_weight_kernelIffLi2ELi2EEEvN5torch10headeronly6detail27GenericPackedTensorAccessorINS5_14TensorAccessorIN3c108ArrayRefIlEEKT_Lm4ENS4_16DefaultPtrTraitsEiEENS_6detail16IndexBoundsCheckILm5EiEESC_Lm5ESD_iEESI_NS6_INS7_ISA_SB_Lm4ESD_iEESH_SB_Lm5ESD_iEEiiiiiiiii
	.p2align	8
	.type	_ZN2at6native12_GLOBAL__N_144conv_depthwise3d_cuda_backward_weight_kernelIffLi2ELi2EEEvN5torch10headeronly6detail27GenericPackedTensorAccessorINS5_14TensorAccessorIN3c108ArrayRefIlEEKT_Lm4ENS4_16DefaultPtrTraitsEiEENS_6detail16IndexBoundsCheckILm5EiEESC_Lm5ESD_iEESI_NS6_INS7_ISA_SB_Lm4ESD_iEESH_SB_Lm5ESD_iEEiiiiiiiii,@function
_ZN2at6native12_GLOBAL__N_144conv_depthwise3d_cuda_backward_weight_kernelIffLi2ELi2EEEvN5torch10headeronly6detail27GenericPackedTensorAccessorINS5_14TensorAccessorIN3c108ArrayRefIlEEKT_Lm4ENS4_16DefaultPtrTraitsEiEENS_6detail16IndexBoundsCheckILm5EiEESC_Lm5ESD_iEESI_NS6_INS7_ISA_SB_Lm4ESD_iEESH_SB_Lm5ESD_iEEiiiiiiiii: ; @_ZN2at6native12_GLOBAL__N_144conv_depthwise3d_cuda_backward_weight_kernelIffLi2ELi2EEEvN5torch10headeronly6detail27GenericPackedTensorAccessorINS5_14TensorAccessorIN3c108ArrayRefIlEEKT_Lm4ENS4_16DefaultPtrTraitsEiEENS_6detail16IndexBoundsCheckILm5EiEESC_Lm5ESD_iEESI_NS6_INS7_ISA_SB_Lm4ESD_iEESH_SB_Lm5ESD_iEEiiiiiiiii
; %bb.0:
	s_clause 0x2
	s_load_b128 s[4:7], s[0:1], 0x70
	s_load_b128 s[12:15], s[0:1], 0x3c
	;; [unrolled: 1-line block ×3, first 2 shown]
	s_wait_kmcnt 0x0
	s_cvt_f32_u32 s2, s6
	s_cvt_f32_u32 s3, s5
	s_sub_co_i32 s8, 0, s6
	s_delay_alu instid0(SALU_CYCLE_1) | instskip(NEXT) | instid1(TRANS32_DEP_1)
	v_rcp_iflag_f32_e32 v1, s2
	v_readfirstlane_b32 s2, v1
	v_rcp_iflag_f32_e32 v1, s3
	s_mul_f32 s2, s2, 0x4f7ffffe
	s_wait_alu 0xfffe
	s_delay_alu instid0(SALU_CYCLE_2) | instskip(NEXT) | instid1(TRANS32_DEP_1)
	s_cvt_u32_f32 s2, s2
	v_readfirstlane_b32 s9, v1
	s_wait_alu 0xfffe
	s_delay_alu instid0(SALU_CYCLE_1) | instskip(NEXT) | instid1(SALU_CYCLE_1)
	s_mul_i32 s8, s8, s2
	s_mul_hi_u32 s3, s2, s8
	s_mul_f32 s9, s9, 0x4f7ffffe
	s_wait_alu 0xfffe
	s_add_co_i32 s2, s2, s3
	s_cvt_f32_u32 s3, s4
	s_wait_alu 0xfffe
	s_mul_hi_u32 s2, ttmp9, s2
	s_wait_alu 0xfffe
	s_mul_i32 s8, s2, s6
	s_add_co_i32 s10, s2, 1
	s_sub_co_i32 s8, ttmp9, s8
	v_rcp_iflag_f32_e32 v1, s3
	s_sub_co_i32 s11, s8, s6
	s_cmp_ge_u32 s8, s6
	s_cselect_b32 s2, s10, s2
	s_cselect_b32 s8, s11, s8
	s_wait_alu 0xfffe
	s_add_co_i32 s10, s2, 1
	s_cmp_ge_u32 s8, s6
	s_cvt_u32_f32 s8, s9
	s_cselect_b32 s2, s10, s2
	s_sub_co_i32 s9, 0, s5
	s_delay_alu instid0(SALU_CYCLE_1) | instskip(NEXT) | instid1(SALU_CYCLE_1)
	s_mul_i32 s9, s9, s8
	s_mul_hi_u32 s3, s8, s9
	v_readfirstlane_b32 s9, v1
	s_wait_alu 0xfffe
	s_add_co_i32 s8, s8, s3
	s_delay_alu instid0(SALU_CYCLE_1)
	s_mul_hi_u32 s3, s2, s8
	s_wait_alu 0xfffe
	s_mul_i32 s8, s3, s5
	s_add_co_i32 s10, s3, 1
	s_sub_co_i32 s8, s2, s8
	s_mul_f32 s9, s9, 0x4f7ffffe
	s_sub_co_i32 s11, s8, s5
	s_cmp_ge_u32 s8, s5
	s_cselect_b32 s3, s10, s3
	s_cselect_b32 s8, s11, s8
	s_wait_alu 0xfffe
	s_add_co_i32 s10, s3, 1
	s_cmp_ge_u32 s8, s5
	s_cvt_u32_f32 s8, s9
	s_cselect_b32 s20, s10, s3
	s_sub_co_i32 s3, 0, s4
	s_wait_alu 0xfffe
	s_mul_i32 s3, s3, s8
	s_wait_alu 0xfffe
	s_mul_hi_u32 s3, s8, s3
	s_wait_alu 0xfffe
	s_add_co_i32 s8, s8, s3
	s_delay_alu instid0(SALU_CYCLE_1) | instskip(SKIP_4) | instid1(SALU_CYCLE_1)
	s_mul_hi_u32 s3, s20, s8
	s_wait_alu 0xfffe
	s_mul_i32 s8, s3, s4
	s_add_co_i32 s9, s3, 1
	s_sub_co_i32 s8, s20, s8
	s_sub_co_i32 s10, s8, s4
	s_cmp_ge_u32 s8, s4
	s_cselect_b32 s3, s9, s3
	s_cselect_b32 s8, s10, s8
	s_wait_alu 0xfffe
	s_add_co_i32 s9, s3, 1
	s_cmp_ge_u32 s8, s4
	s_cselect_b32 s27, s9, s3
	s_abs_i32 s3, s12
	s_abs_i32 s10, s16
	s_wait_alu 0xfffe
	s_cvt_f32_u32 s8, s3
	s_sub_co_i32 s9, 0, s3
	s_delay_alu instid0(SALU_CYCLE_2) | instskip(NEXT) | instid1(TRANS32_DEP_1)
	v_rcp_iflag_f32_e32 v1, s8
	v_readfirstlane_b32 s8, v1
	s_mul_f32 s8, s8, 0x4f7ffffe
	s_wait_alu 0xfffe
	s_delay_alu instid0(SALU_CYCLE_2) | instskip(SKIP_1) | instid1(SALU_CYCLE_2)
	s_cvt_u32_f32 s8, s8
	s_wait_alu 0xfffe
	s_mul_i32 s9, s9, s8
	s_wait_alu 0xfffe
	s_mul_hi_u32 s9, s8, s9
	s_wait_alu 0xfffe
	s_add_co_i32 s8, s8, s9
	s_xor_b32 s9, s16, s12
	s_wait_alu 0xfffe
	s_mul_hi_u32 s8, s10, s8
	s_ashr_i32 s9, s9, 31
	s_wait_alu 0xfffe
	s_mul_i32 s11, s8, s3
	s_delay_alu instid0(SALU_CYCLE_1)
	s_sub_co_i32 s10, s10, s11
	s_add_co_i32 s11, s8, 1
	s_sub_co_i32 s12, s10, s3
	s_cmp_ge_u32 s10, s3
	s_cselect_b32 s8, s11, s8
	s_cselect_b32 s10, s12, s10
	s_wait_alu 0xfffe
	s_add_co_i32 s11, s8, 1
	s_cmp_ge_u32 s10, s3
	s_cselect_b32 s3, s11, s8
	s_load_b32 s8, s[0:1], 0x68
	s_xor_b32 s3, s3, s9
	s_wait_alu 0xfffe
	s_sub_co_i32 s21, s3, s9
	s_delay_alu instid0(SALU_CYCLE_1) | instskip(NEXT) | instid1(SALU_CYCLE_1)
	s_abs_i32 s12, s21
	s_cvt_f32_u32 s3, s12
	s_wait_alu 0xfffe
	s_delay_alu instid0(SALU_CYCLE_2) | instskip(SKIP_3) | instid1(TRANS32_DEP_1)
	v_rcp_iflag_f32_e32 v1, s3
	s_mov_b32 s3, 0
	s_wait_kmcnt 0x0
	s_cmp_ge_i32 s27, s8
	v_readfirstlane_b32 s22, v1
	s_cbranch_scc1 .LBB36_28
; %bb.1:
	s_load_b32 s38, s[0:1], 0x38
	s_add_nc_u64 s[28:29], s[0:1], 0x60
	s_load_b32 s23, s[0:1], 0xc4
	s_load_b128 s[8:11], s[28:29], 0x24
	v_lshrrev_b32_e32 v4, 5, v0
	v_mov_b32_e32 v7, 0
	s_mul_i32 s6, s2, s6
	s_mul_i32 s5, s20, s5
	;; [unrolled: 1-line block ×3, first 2 shown]
	s_sub_co_i32 s16, ttmp9, s6
	s_sub_co_i32 s33, s2, s5
	s_sub_co_i32 s36, s20, s4
	s_mov_b32 s39, exec_lo
	s_wait_kmcnt 0x0
	s_mul_i32 s38, s38, s17
	s_and_b32 s37, s23, 0xffff
	v_cmpx_gt_i32_e64 s38, v4
	s_cbranch_execz .LBB36_23
; %bb.2:
	s_mul_f32 s2, s22, 0x4f7ffffe
	s_mov_b32 s40, 0
	s_wait_alu 0xfffe
	s_delay_alu instid0(SALU_CYCLE_1) | instskip(SKIP_2) | instid1(SALU_CYCLE_1)
	s_cvt_u32_f32 s4, s2
	s_sub_co_i32 s2, 0, s12
	s_wait_alu 0xfffe
	s_mul_i32 s5, s2, s4
	s_abs_i32 s2, s27
	s_mul_hi_u32 s6, s4, s5
	s_mov_b32 s5, s3
	s_add_co_i32 s4, s4, s6
	s_ashr_i32 s6, s21, 31
	s_wait_alu 0xfffe
	s_mul_u64 s[4:5], s[2:3], s[4:5]
	s_ashr_i32 s4, s27, 31
	s_mul_i32 s20, s5, s12
	s_lshr_b32 s3, s37, 5
	s_sub_co_i32 s2, s2, s20
	s_xor_b32 s41, s4, s6
	s_add_co_i32 s4, s5, 1
	s_wait_alu 0xfffe
	s_sub_co_i32 s6, s2, s12
	s_cmp_ge_u32 s2, s12
	s_cselect_b32 s4, s4, s5
	s_cselect_b32 s2, s6, s2
	s_add_co_i32 s5, s4, 1
	s_wait_alu 0xfffe
	s_cmp_ge_u32 s2, s12
	s_cselect_b32 s2, s5, s4
	s_abs_i32 s12, s17
	s_abs_i32 s44, s19
	s_cvt_f32_u32 s4, s12
	s_cvt_f32_u32 s5, s44
	s_sub_co_i32 s6, 0, s12
	s_sub_co_i32 s20, 0, s44
	v_rcp_iflag_f32_e32 v1, s4
	v_rcp_iflag_f32_e32 v2, s5
	s_delay_alu instid0(TRANS32_DEP_2) | instskip(NEXT) | instid1(TRANS32_DEP_1)
	v_readfirstlane_b32 s4, v1
	v_readfirstlane_b32 s5, v2
	s_mul_f32 s4, s4, 0x4f7ffffe
	s_mul_f32 s5, s5, 0x4f7ffffe
	s_wait_alu 0xfffe
	s_delay_alu instid0(SALU_CYCLE_1) | instskip(NEXT) | instid1(SALU_CYCLE_1)
	s_cvt_u32_f32 s4, s4
	s_cvt_u32_f32 s5, s5
	s_wait_alu 0xfffe
	s_delay_alu instid0(SALU_CYCLE_1) | instskip(NEXT) | instid1(SALU_CYCLE_1)
	s_mul_i32 s6, s6, s4
	s_mul_i32 s20, s20, s5
	s_mul_hi_u32 s6, s4, s6
	s_delay_alu instid0(SALU_CYCLE_1)
	s_add_co_i32 s4, s4, s6
	s_mul_hi_u32 s6, s5, s20
	s_wait_alu 0xfffe
	v_mul_hi_u32 v2, v4, s4
	v_mov_b32_e32 v5, 0
	s_add_co_i32 s5, s5, s6
	s_clause 0x1
	s_load_b128 s[20:23], s[0:1], 0x9c
	s_load_b64 s[42:43], s[0:1], 0xac
	s_delay_alu instid0(VALU_DEP_2) | instskip(SKIP_1) | instid1(VALU_DEP_2)
	v_mul_lo_u32 v6, v2, s12
	v_add_nc_u32_e32 v8, 1, v2
	v_sub_nc_u32_e32 v9, v4, v6
	s_delay_alu instid0(VALU_DEP_1) | instskip(SKIP_4) | instid1(VALU_DEP_1)
	v_cmp_le_u32_e32 vcc_lo, s12, v9
	s_wait_kmcnt 0x0
	s_mul_i32 s43, s16, s43
	v_cndmask_b32_e32 v2, v2, v8, vcc_lo
	v_subrev_nc_u32_e32 v8, s12, v9
	v_dual_cndmask_b32 v8, v9, v8 :: v_dual_add_nc_u32 v9, 1, v2
	s_delay_alu instid0(VALU_DEP_1) | instskip(SKIP_1) | instid1(VALU_DEP_2)
	v_cmp_le_u32_e32 vcc_lo, s12, v8
	s_wait_alu 0xfffd
	v_dual_cndmask_b32 v2, v2, v9 :: v_dual_and_b32 v1, 31, v0
	s_delay_alu instid0(VALU_DEP_1)
	v_mul_hi_u32 v3, v1, s5
	s_clause 0x3
	s_load_b64 s[30:31], s[0:1], 0x0
	s_load_b96 s[4:6], s[0:1], 0x1c
	s_load_b64 s[34:35], s[0:1], 0x30
	s_load_b96 s[24:26], s[0:1], 0x4c
	s_mul_i32 s1, s36, s23
	s_ashr_i32 s23, s19, 31
	s_sub_co_i32 s12, s1, s20
	s_xor_b32 s1, s2, s41
	v_mul_lo_u32 v7, v3, s44
	s_sub_co_i32 s2, s1, s41
	s_delay_alu instid0(VALU_DEP_1) | instskip(NEXT) | instid1(VALU_DEP_1)
	v_sub_nc_u32_e32 v7, v1, v7
	v_subrev_nc_u32_e32 v10, s44, v7
	v_cmp_le_u32_e64 s0, s44, v7
	s_delay_alu instid0(VALU_DEP_1) | instskip(NEXT) | instid1(VALU_DEP_1)
	v_cndmask_b32_e64 v7, v7, v10, s0
	v_cmp_le_u32_e32 vcc_lo, s44, v7
	v_add_nc_u32_e32 v6, 1, v3
	s_wait_kmcnt 0x0
	s_wait_alu 0xfffe
	s_mul_i32 s44, s25, s2
	v_mov_b32_e32 v7, 0
	s_wait_alu 0xfffe
	s_ashr_i32 s45, s44, 31
	v_cndmask_b32_e64 v3, v3, v6, s0
	s_mul_i32 s0, s5, s27
	s_ashr_i32 s5, s17, 31
	s_wait_alu 0xfffe
	s_ashr_i32 s1, s0, 31
	v_xor_b32_e32 v2, s5, v2
	v_add_nc_u32_e32 v10, 1, v3
	s_wait_alu 0xfffe
	s_lshl_b64 s[0:1], s[0:1], 2
	v_lshlrev_b32_e32 v6, 2, v1
	s_lshl_b64 s[44:45], s[44:45], 2
	v_subrev_nc_u32_e32 v8, s5, v2
	s_wait_alu 0xfffd
	v_cndmask_b32_e32 v3, v3, v10, vcc_lo
	s_wait_alu 0xfffe
	s_add_nc_u64 s[30:31], s[30:31], s[0:1]
	s_mul_i32 s0, s33, s42
	s_add_nc_u64 s[34:35], s[34:35], s[44:45]
	v_mul_lo_u32 v2, v8, s17
	v_xor_b32_e32 v3, s23, v3
	s_sub_co_i32 s5, s43, s22
	s_wait_alu 0xfffe
	s_sub_co_i32 s20, s0, s21
	s_delay_alu instid0(VALU_DEP_1) | instskip(NEXT) | instid1(VALU_DEP_3)
	v_subrev_nc_u32_e32 v9, s23, v3
	v_sub_nc_u32_e32 v10, v4, v2
	s_delay_alu instid0(VALU_DEP_2) | instskip(SKIP_1) | instid1(VALU_DEP_2)
	v_mul_lo_u32 v3, v9, s19
	v_cmp_gt_i32_e32 vcc_lo, s18, v9
	v_sub_nc_u32_e32 v11, v1, v3
	s_branch .LBB36_6
.LBB36_3:                               ;   in Loop: Header=BB36_6 Depth=1
	s_or_b32 exec_lo, exec_lo, s23
.LBB36_4:                               ;   in Loop: Header=BB36_6 Depth=1
	s_wait_alu 0xfffe
	s_or_b32 exec_lo, exec_lo, s22
.LBB36_5:                               ;   in Loop: Header=BB36_6 Depth=1
	s_wait_alu 0xfffe
	s_or_b32 exec_lo, exec_lo, s21
	v_add_nc_u32_e32 v4, s3, v4
	v_add_nc_u32_e32 v10, s3, v10
	s_delay_alu instid0(VALU_DEP_2) | instskip(SKIP_1) | instid1(SALU_CYCLE_1)
	v_cmp_le_i32_e64 s0, s38, v4
	s_or_b32 s40, s0, s40
	s_and_not1_b32 exec_lo, exec_lo, s40
	s_cbranch_execz .LBB36_22
.LBB36_6:                               ; =>This Loop Header: Depth=1
                                        ;     Child Loop BB36_8 Depth 2
                                        ;     Child Loop BB36_14 Depth 2
                                        ;       Child Loop BB36_20 Depth 3
	s_mov_b32 s1, exec_lo
	v_cmpx_le_i32_e64 s17, v10
	s_cbranch_execz .LBB36_10
; %bb.7:                                ;   in Loop: Header=BB36_6 Depth=1
	s_mov_b32 s2, 0
.LBB36_8:                               ;   Parent Loop BB36_6 Depth=1
                                        ; =>  This Inner Loop Header: Depth=2
	v_subrev_nc_u32_e32 v10, s17, v10
	v_add_nc_u32_e32 v8, 1, v8
	s_delay_alu instid0(VALU_DEP_2)
	v_cmp_gt_i32_e64 s0, s17, v10
	s_wait_alu 0xfffe
	s_or_b32 s2, s0, s2
	s_wait_alu 0xfffe
	s_and_not1_b32 exec_lo, exec_lo, s2
	s_cbranch_execnz .LBB36_8
; %bb.9:                                ;   in Loop: Header=BB36_6 Depth=1
	s_or_b32 exec_lo, exec_lo, s2
.LBB36_10:                              ;   in Loop: Header=BB36_6 Depth=1
	s_wait_alu 0xfffe
	s_or_b32 exec_lo, exec_lo, s1
	v_mad_co_u64_u32 v[1:2], null, v10, s11, s[12:13]
	s_delay_alu instid0(VALU_DEP_1)
	v_cmp_lt_i32_e64 s0, -1, v1
	v_cmp_gt_i32_e64 s1, s13, v1
	s_and_b32 s0, s0, s1
	s_wait_alu 0xfffe
	s_and_saveexec_b32 s21, s0
	s_cbranch_execz .LBB36_5
; %bb.11:                               ;   in Loop: Header=BB36_6 Depth=1
	s_and_saveexec_b32 s22, vcc_lo
	s_cbranch_execz .LBB36_4
; %bb.12:                               ;   in Loop: Header=BB36_6 Depth=1
	v_mul_lo_u32 v2, s4, v8
	v_mul_lo_u32 v12, s24, v8
	;; [unrolled: 1-line block ×4, first 2 shown]
	s_mov_b32 s23, 0
	s_delay_alu instid0(VALU_DEP_4) | instskip(NEXT) | instid1(VALU_DEP_4)
	v_ashrrev_i32_e32 v3, 31, v2
	v_ashrrev_i32_e32 v13, 31, v12
	s_delay_alu instid0(VALU_DEP_4) | instskip(NEXT) | instid1(VALU_DEP_4)
	v_ashrrev_i32_e32 v17, 31, v16
	v_ashrrev_i32_e32 v15, 31, v14
	s_delay_alu instid0(VALU_DEP_4) | instskip(NEXT) | instid1(VALU_DEP_4)
	v_lshlrev_b64_e32 v[1:2], 2, v[2:3]
	v_lshlrev_b64_e32 v[12:13], 2, v[12:13]
	s_delay_alu instid0(VALU_DEP_4) | instskip(NEXT) | instid1(VALU_DEP_4)
	v_lshlrev_b64_e32 v[16:17], 2, v[16:17]
	v_lshlrev_b64_e32 v[14:15], 2, v[14:15]
	s_delay_alu instid0(VALU_DEP_4)
	v_add_co_u32 v1, s0, s30, v1
	s_wait_alu 0xf1ff
	v_add_co_ci_u32_e64 v2, null, s31, v2, s0
	v_add_co_u32 v3, s0, s34, v12
	s_wait_alu 0xf1ff
	v_add_co_ci_u32_e64 v13, null, s35, v13, s0
	v_add_co_u32 v1, s0, v1, v16
	s_wait_alu 0xf1ff
	v_add_co_ci_u32_e64 v2, null, v2, v17, s0
	v_add_co_u32 v12, s0, v3, v14
	s_wait_alu 0xf1ff
	v_add_co_ci_u32_e64 v13, null, v13, v15, s0
	v_add_co_u32 v1, s0, v1, v6
	s_wait_alu 0xf1ff
	v_add_co_ci_u32_e64 v2, null, 0, v2, s0
	v_dual_mov_b32 v14, v11 :: v_dual_mov_b32 v15, v9
	s_branch .LBB36_14
.LBB36_13:                              ;   in Loop: Header=BB36_14 Depth=2
	s_wait_alu 0xfffe
	s_or_b32 exec_lo, exec_lo, s1
	v_cmp_le_i32_e64 s0, s18, v15
	v_add_co_u32 v1, s1, 0x80, v1
	s_wait_alu 0xf1ff
	v_add_co_ci_u32_e64 v2, null, 0, v2, s1
	s_wait_loadcnt 0x0
	v_fmac_f32_e32 v7, v16, v17
	s_or_b32 s23, s0, s23
	s_wait_alu 0xfffe
	s_and_not1_b32 exec_lo, exec_lo, s23
	s_cbranch_execz .LBB36_3
.LBB36_14:                              ;   Parent Loop BB36_6 Depth=1
                                        ; =>  This Loop Header: Depth=2
                                        ;       Child Loop BB36_20 Depth 3
	global_load_b32 v16, v[1:2], off
	v_lshl_add_u32 v3, v14, 1, s5
	v_mov_b32_e32 v17, 0
	s_mov_b32 s25, exec_lo
	s_delay_alu instid0(VALU_DEP_2)
	v_cmpx_lt_i32_e32 -1, v3
	s_cbranch_execz .LBB36_18
; %bb.15:                               ;   in Loop: Header=BB36_14 Depth=2
	v_lshl_add_u32 v18, v15, 1, s20
	v_cmp_gt_i32_e64 s0, s15, v3
	v_mov_b32_e32 v17, 0
	s_delay_alu instid0(VALU_DEP_3)
	v_cmp_gt_i32_e64 s1, s14, v18
	v_cmp_lt_i32_e64 s2, -1, v18
	s_and_b32 s0, s0, s1
	s_wait_alu 0xfffe
	s_and_b32 s0, s0, s2
	s_wait_alu 0xfffe
	s_and_saveexec_b32 s1, s0
	s_cbranch_execz .LBB36_17
; %bb.16:                               ;   in Loop: Header=BB36_14 Depth=2
	v_mad_co_u64_u32 v[17:18], null, v18, s15, v[3:4]
	v_mov_b32_e32 v18, v5
	s_delay_alu instid0(VALU_DEP_1) | instskip(NEXT) | instid1(VALU_DEP_1)
	v_lshlrev_b64_e32 v[17:18], 2, v[17:18]
	v_add_co_u32 v17, s0, v12, v17
	s_wait_alu 0xf1ff
	s_delay_alu instid0(VALU_DEP_2)
	v_add_co_ci_u32_e64 v18, null, v13, v18, s0
	global_load_b32 v17, v[17:18], off
.LBB36_17:                              ;   in Loop: Header=BB36_14 Depth=2
	s_wait_alu 0xfffe
	s_or_b32 exec_lo, exec_lo, s1
.LBB36_18:                              ;   in Loop: Header=BB36_14 Depth=2
	s_wait_alu 0xfffe
	s_or_b32 exec_lo, exec_lo, s25
	v_add_nc_u32_e32 v14, 32, v14
	s_mov_b32 s1, exec_lo
	s_delay_alu instid0(VALU_DEP_1)
	v_cmpx_le_i32_e64 s19, v14
	s_cbranch_execz .LBB36_13
; %bb.19:                               ;   in Loop: Header=BB36_14 Depth=2
	s_mov_b32 s2, 0
.LBB36_20:                              ;   Parent Loop BB36_6 Depth=1
                                        ;     Parent Loop BB36_14 Depth=2
                                        ; =>    This Inner Loop Header: Depth=3
	v_subrev_nc_u32_e32 v14, s19, v14
	v_add_nc_u32_e32 v15, 1, v15
	s_delay_alu instid0(VALU_DEP_2)
	v_cmp_gt_i32_e64 s0, s19, v14
	s_wait_alu 0xfffe
	s_or_b32 s2, s0, s2
	s_wait_alu 0xfffe
	s_and_not1_b32 exec_lo, exec_lo, s2
	s_cbranch_execnz .LBB36_20
; %bb.21:                               ;   in Loop: Header=BB36_14 Depth=2
	s_or_b32 exec_lo, exec_lo, s2
	s_branch .LBB36_13
.LBB36_22:
	s_or_b32 exec_lo, exec_lo, s40
.LBB36_23:
	s_delay_alu instid0(SALU_CYCLE_1)
	s_or_b32 exec_lo, exec_lo, s39
	s_load_b64 s[0:1], s[28:29], 0x0
	v_lshl_add_u32 v1, v0, 2, 0
	s_bcnt1_i32_b32 s2, s37
	s_wait_alu 0xfffe
	s_cmp_lg_u32 s2, 1
	s_mov_b32 s2, -1
	ds_store_b32 v1, v7
	s_wait_dscnt 0x0
	s_barrier_signal -1
	s_barrier_wait -1
	global_inv scope:SCOPE_SE
	s_cbranch_scc1 .LBB36_32
; %bb.24:
	s_wait_alu 0xfffe
	s_and_not1_b32 vcc_lo, exec_lo, s2
	s_wait_alu 0xfffe
	s_cbranch_vccnz .LBB36_28
.LBB36_25:
	s_cmp_lt_u32 s37, 2
	s_cbranch_scc0 .LBB36_30
.LBB36_26:
	s_mov_b32 s2, exec_lo
	v_cmpx_eq_u32_e32 0, v0
	s_cbranch_execz .LBB36_28
; %bb.27:
	v_mov_b32_e32 v0, 0
	s_mul_i32 s2, s7, s27
	s_mul_i32 s4, s8, s36
	s_wait_alu 0xfffe
	s_ashr_i32 s3, s2, 31
	s_ashr_i32 s5, s4, 31
	ds_load_b32 v1, v0
	s_wait_alu 0xfffe
	s_lshl_b64 s[2:3], s[2:3], 2
	s_wait_kmcnt 0x0
	s_wait_alu 0xfffe
	s_add_nc_u64 s[0:1], s[0:1], s[2:3]
	s_lshl_b64 s[2:3], s[4:5], 2
	s_mul_i32 s4, s9, s33
	s_wait_alu 0xfffe
	s_add_nc_u64 s[0:1], s[0:1], s[2:3]
	s_ashr_i32 s5, s4, 31
	s_mul_i32 s2, s10, s16
	s_wait_alu 0xfffe
	s_lshl_b64 s[4:5], s[4:5], 2
	s_ashr_i32 s3, s2, 31
	s_wait_alu 0xfffe
	s_add_nc_u64 s[0:1], s[0:1], s[4:5]
	s_lshl_b64 s[2:3], s[2:3], 2
	s_wait_alu 0xfffe
	s_add_nc_u64 s[0:1], s[0:1], s[2:3]
	s_wait_dscnt 0x0
	global_store_b32 v0, v1, s[0:1]
.LBB36_28:
	s_endpgm
.LBB36_29:                              ;   in Loop: Header=BB36_30 Depth=1
	s_or_b32 exec_lo, exec_lo, s3
	s_cmp_lt_u32 s37, 4
	s_mov_b32 s37, s2
	s_wait_loadcnt_dscnt 0x0
	s_barrier_signal -1
	s_barrier_wait -1
	global_inv scope:SCOPE_SE
	s_cbranch_scc1 .LBB36_26
.LBB36_30:                              ; =>This Inner Loop Header: Depth=1
	s_lshr_b32 s2, s37, 1
	s_mov_b32 s3, exec_lo
	s_wait_alu 0xfffe
	v_cmpx_gt_u32_e64 s2, v0
	s_cbranch_execz .LBB36_29
; %bb.31:                               ;   in Loop: Header=BB36_30 Depth=1
	v_lshl_add_u32 v2, s2, 2, v1
	ds_load_b32 v2, v2
	ds_load_b32 v3, v1
	s_wait_dscnt 0x0
	v_add_f32_e32 v2, v2, v3
	ds_store_b32 v1, v2
	s_branch .LBB36_29
.LBB36_32:
	s_trap 2
	; divergent unreachable
	s_cbranch_execz .LBB36_25
	s_branch .LBB36_28
	.section	.rodata,"a",@progbits
	.p2align	6, 0x0
	.amdhsa_kernel _ZN2at6native12_GLOBAL__N_144conv_depthwise3d_cuda_backward_weight_kernelIffLi2ELi2EEEvN5torch10headeronly6detail27GenericPackedTensorAccessorINS5_14TensorAccessorIN3c108ArrayRefIlEEKT_Lm4ENS4_16DefaultPtrTraitsEiEENS_6detail16IndexBoundsCheckILm5EiEESC_Lm5ESD_iEESI_NS6_INS7_ISA_SB_Lm4ESD_iEESH_SB_Lm5ESD_iEEiiiiiiiii
		.amdhsa_group_segment_fixed_size 0
		.amdhsa_private_segment_fixed_size 0
		.amdhsa_kernarg_size 440
		.amdhsa_user_sgpr_count 2
		.amdhsa_user_sgpr_dispatch_ptr 0
		.amdhsa_user_sgpr_queue_ptr 0
		.amdhsa_user_sgpr_kernarg_segment_ptr 1
		.amdhsa_user_sgpr_dispatch_id 0
		.amdhsa_user_sgpr_private_segment_size 0
		.amdhsa_wavefront_size32 1
		.amdhsa_uses_dynamic_stack 0
		.amdhsa_enable_private_segment 0
		.amdhsa_system_sgpr_workgroup_id_x 1
		.amdhsa_system_sgpr_workgroup_id_y 0
		.amdhsa_system_sgpr_workgroup_id_z 0
		.amdhsa_system_sgpr_workgroup_info 0
		.amdhsa_system_vgpr_workitem_id 0
		.amdhsa_next_free_vgpr 19
		.amdhsa_next_free_sgpr 46
		.amdhsa_reserve_vcc 1
		.amdhsa_float_round_mode_32 0
		.amdhsa_float_round_mode_16_64 0
		.amdhsa_float_denorm_mode_32 3
		.amdhsa_float_denorm_mode_16_64 3
		.amdhsa_fp16_overflow 0
		.amdhsa_workgroup_processor_mode 1
		.amdhsa_memory_ordered 1
		.amdhsa_forward_progress 1
		.amdhsa_inst_pref_size 19
		.amdhsa_round_robin_scheduling 0
		.amdhsa_exception_fp_ieee_invalid_op 0
		.amdhsa_exception_fp_denorm_src 0
		.amdhsa_exception_fp_ieee_div_zero 0
		.amdhsa_exception_fp_ieee_overflow 0
		.amdhsa_exception_fp_ieee_underflow 0
		.amdhsa_exception_fp_ieee_inexact 0
		.amdhsa_exception_int_div_zero 0
	.end_amdhsa_kernel
	.section	.text._ZN2at6native12_GLOBAL__N_144conv_depthwise3d_cuda_backward_weight_kernelIffLi2ELi2EEEvN5torch10headeronly6detail27GenericPackedTensorAccessorINS5_14TensorAccessorIN3c108ArrayRefIlEEKT_Lm4ENS4_16DefaultPtrTraitsEiEENS_6detail16IndexBoundsCheckILm5EiEESC_Lm5ESD_iEESI_NS6_INS7_ISA_SB_Lm4ESD_iEESH_SB_Lm5ESD_iEEiiiiiiiii,"axG",@progbits,_ZN2at6native12_GLOBAL__N_144conv_depthwise3d_cuda_backward_weight_kernelIffLi2ELi2EEEvN5torch10headeronly6detail27GenericPackedTensorAccessorINS5_14TensorAccessorIN3c108ArrayRefIlEEKT_Lm4ENS4_16DefaultPtrTraitsEiEENS_6detail16IndexBoundsCheckILm5EiEESC_Lm5ESD_iEESI_NS6_INS7_ISA_SB_Lm4ESD_iEESH_SB_Lm5ESD_iEEiiiiiiiii,comdat
.Lfunc_end36:
	.size	_ZN2at6native12_GLOBAL__N_144conv_depthwise3d_cuda_backward_weight_kernelIffLi2ELi2EEEvN5torch10headeronly6detail27GenericPackedTensorAccessorINS5_14TensorAccessorIN3c108ArrayRefIlEEKT_Lm4ENS4_16DefaultPtrTraitsEiEENS_6detail16IndexBoundsCheckILm5EiEESC_Lm5ESD_iEESI_NS6_INS7_ISA_SB_Lm4ESD_iEESH_SB_Lm5ESD_iEEiiiiiiiii, .Lfunc_end36-_ZN2at6native12_GLOBAL__N_144conv_depthwise3d_cuda_backward_weight_kernelIffLi2ELi2EEEvN5torch10headeronly6detail27GenericPackedTensorAccessorINS5_14TensorAccessorIN3c108ArrayRefIlEEKT_Lm4ENS4_16DefaultPtrTraitsEiEENS_6detail16IndexBoundsCheckILm5EiEESC_Lm5ESD_iEESI_NS6_INS7_ISA_SB_Lm4ESD_iEESH_SB_Lm5ESD_iEEiiiiiiiii
                                        ; -- End function
	.set _ZN2at6native12_GLOBAL__N_144conv_depthwise3d_cuda_backward_weight_kernelIffLi2ELi2EEEvN5torch10headeronly6detail27GenericPackedTensorAccessorINS5_14TensorAccessorIN3c108ArrayRefIlEEKT_Lm4ENS4_16DefaultPtrTraitsEiEENS_6detail16IndexBoundsCheckILm5EiEESC_Lm5ESD_iEESI_NS6_INS7_ISA_SB_Lm4ESD_iEESH_SB_Lm5ESD_iEEiiiiiiiii.num_vgpr, 19
	.set _ZN2at6native12_GLOBAL__N_144conv_depthwise3d_cuda_backward_weight_kernelIffLi2ELi2EEEvN5torch10headeronly6detail27GenericPackedTensorAccessorINS5_14TensorAccessorIN3c108ArrayRefIlEEKT_Lm4ENS4_16DefaultPtrTraitsEiEENS_6detail16IndexBoundsCheckILm5EiEESC_Lm5ESD_iEESI_NS6_INS7_ISA_SB_Lm4ESD_iEESH_SB_Lm5ESD_iEEiiiiiiiii.num_agpr, 0
	.set _ZN2at6native12_GLOBAL__N_144conv_depthwise3d_cuda_backward_weight_kernelIffLi2ELi2EEEvN5torch10headeronly6detail27GenericPackedTensorAccessorINS5_14TensorAccessorIN3c108ArrayRefIlEEKT_Lm4ENS4_16DefaultPtrTraitsEiEENS_6detail16IndexBoundsCheckILm5EiEESC_Lm5ESD_iEESI_NS6_INS7_ISA_SB_Lm4ESD_iEESH_SB_Lm5ESD_iEEiiiiiiiii.numbered_sgpr, 46
	.set _ZN2at6native12_GLOBAL__N_144conv_depthwise3d_cuda_backward_weight_kernelIffLi2ELi2EEEvN5torch10headeronly6detail27GenericPackedTensorAccessorINS5_14TensorAccessorIN3c108ArrayRefIlEEKT_Lm4ENS4_16DefaultPtrTraitsEiEENS_6detail16IndexBoundsCheckILm5EiEESC_Lm5ESD_iEESI_NS6_INS7_ISA_SB_Lm4ESD_iEESH_SB_Lm5ESD_iEEiiiiiiiii.num_named_barrier, 0
	.set _ZN2at6native12_GLOBAL__N_144conv_depthwise3d_cuda_backward_weight_kernelIffLi2ELi2EEEvN5torch10headeronly6detail27GenericPackedTensorAccessorINS5_14TensorAccessorIN3c108ArrayRefIlEEKT_Lm4ENS4_16DefaultPtrTraitsEiEENS_6detail16IndexBoundsCheckILm5EiEESC_Lm5ESD_iEESI_NS6_INS7_ISA_SB_Lm4ESD_iEESH_SB_Lm5ESD_iEEiiiiiiiii.private_seg_size, 0
	.set _ZN2at6native12_GLOBAL__N_144conv_depthwise3d_cuda_backward_weight_kernelIffLi2ELi2EEEvN5torch10headeronly6detail27GenericPackedTensorAccessorINS5_14TensorAccessorIN3c108ArrayRefIlEEKT_Lm4ENS4_16DefaultPtrTraitsEiEENS_6detail16IndexBoundsCheckILm5EiEESC_Lm5ESD_iEESI_NS6_INS7_ISA_SB_Lm4ESD_iEESH_SB_Lm5ESD_iEEiiiiiiiii.uses_vcc, 1
	.set _ZN2at6native12_GLOBAL__N_144conv_depthwise3d_cuda_backward_weight_kernelIffLi2ELi2EEEvN5torch10headeronly6detail27GenericPackedTensorAccessorINS5_14TensorAccessorIN3c108ArrayRefIlEEKT_Lm4ENS4_16DefaultPtrTraitsEiEENS_6detail16IndexBoundsCheckILm5EiEESC_Lm5ESD_iEESI_NS6_INS7_ISA_SB_Lm4ESD_iEESH_SB_Lm5ESD_iEEiiiiiiiii.uses_flat_scratch, 0
	.set _ZN2at6native12_GLOBAL__N_144conv_depthwise3d_cuda_backward_weight_kernelIffLi2ELi2EEEvN5torch10headeronly6detail27GenericPackedTensorAccessorINS5_14TensorAccessorIN3c108ArrayRefIlEEKT_Lm4ENS4_16DefaultPtrTraitsEiEENS_6detail16IndexBoundsCheckILm5EiEESC_Lm5ESD_iEESI_NS6_INS7_ISA_SB_Lm4ESD_iEESH_SB_Lm5ESD_iEEiiiiiiiii.has_dyn_sized_stack, 0
	.set _ZN2at6native12_GLOBAL__N_144conv_depthwise3d_cuda_backward_weight_kernelIffLi2ELi2EEEvN5torch10headeronly6detail27GenericPackedTensorAccessorINS5_14TensorAccessorIN3c108ArrayRefIlEEKT_Lm4ENS4_16DefaultPtrTraitsEiEENS_6detail16IndexBoundsCheckILm5EiEESC_Lm5ESD_iEESI_NS6_INS7_ISA_SB_Lm4ESD_iEESH_SB_Lm5ESD_iEEiiiiiiiii.has_recursion, 0
	.set _ZN2at6native12_GLOBAL__N_144conv_depthwise3d_cuda_backward_weight_kernelIffLi2ELi2EEEvN5torch10headeronly6detail27GenericPackedTensorAccessorINS5_14TensorAccessorIN3c108ArrayRefIlEEKT_Lm4ENS4_16DefaultPtrTraitsEiEENS_6detail16IndexBoundsCheckILm5EiEESC_Lm5ESD_iEESI_NS6_INS7_ISA_SB_Lm4ESD_iEESH_SB_Lm5ESD_iEEiiiiiiiii.has_indirect_call, 0
	.section	.AMDGPU.csdata,"",@progbits
; Kernel info:
; codeLenInByte = 2344
; TotalNumSgprs: 48
; NumVgprs: 19
; ScratchSize: 0
; MemoryBound: 0
; FloatMode: 240
; IeeeMode: 1
; LDSByteSize: 0 bytes/workgroup (compile time only)
; SGPRBlocks: 0
; VGPRBlocks: 2
; NumSGPRsForWavesPerEU: 48
; NumVGPRsForWavesPerEU: 19
; Occupancy: 16
; WaveLimiterHint : 1
; COMPUTE_PGM_RSRC2:SCRATCH_EN: 0
; COMPUTE_PGM_RSRC2:USER_SGPR: 2
; COMPUTE_PGM_RSRC2:TRAP_HANDLER: 0
; COMPUTE_PGM_RSRC2:TGID_X_EN: 1
; COMPUTE_PGM_RSRC2:TGID_Y_EN: 0
; COMPUTE_PGM_RSRC2:TGID_Z_EN: 0
; COMPUTE_PGM_RSRC2:TIDIG_COMP_CNT: 0
	.section	.text._ZN2at6native12_GLOBAL__N_144conv_depthwise3d_cuda_backward_weight_kernelIffLin1ELin1EEEvN5torch10headeronly6detail27GenericPackedTensorAccessorINS5_14TensorAccessorIN3c108ArrayRefIlEEKT_Lm4ENS4_16DefaultPtrTraitsEiEENS_6detail16IndexBoundsCheckILm5EiEESC_Lm5ESD_iEESI_NS6_INS7_ISA_SB_Lm4ESD_iEESH_SB_Lm5ESD_iEEiiiiiiiii,"axG",@progbits,_ZN2at6native12_GLOBAL__N_144conv_depthwise3d_cuda_backward_weight_kernelIffLin1ELin1EEEvN5torch10headeronly6detail27GenericPackedTensorAccessorINS5_14TensorAccessorIN3c108ArrayRefIlEEKT_Lm4ENS4_16DefaultPtrTraitsEiEENS_6detail16IndexBoundsCheckILm5EiEESC_Lm5ESD_iEESI_NS6_INS7_ISA_SB_Lm4ESD_iEESH_SB_Lm5ESD_iEEiiiiiiiii,comdat
	.globl	_ZN2at6native12_GLOBAL__N_144conv_depthwise3d_cuda_backward_weight_kernelIffLin1ELin1EEEvN5torch10headeronly6detail27GenericPackedTensorAccessorINS5_14TensorAccessorIN3c108ArrayRefIlEEKT_Lm4ENS4_16DefaultPtrTraitsEiEENS_6detail16IndexBoundsCheckILm5EiEESC_Lm5ESD_iEESI_NS6_INS7_ISA_SB_Lm4ESD_iEESH_SB_Lm5ESD_iEEiiiiiiiii ; -- Begin function _ZN2at6native12_GLOBAL__N_144conv_depthwise3d_cuda_backward_weight_kernelIffLin1ELin1EEEvN5torch10headeronly6detail27GenericPackedTensorAccessorINS5_14TensorAccessorIN3c108ArrayRefIlEEKT_Lm4ENS4_16DefaultPtrTraitsEiEENS_6detail16IndexBoundsCheckILm5EiEESC_Lm5ESD_iEESI_NS6_INS7_ISA_SB_Lm4ESD_iEESH_SB_Lm5ESD_iEEiiiiiiiii
	.p2align	8
	.type	_ZN2at6native12_GLOBAL__N_144conv_depthwise3d_cuda_backward_weight_kernelIffLin1ELin1EEEvN5torch10headeronly6detail27GenericPackedTensorAccessorINS5_14TensorAccessorIN3c108ArrayRefIlEEKT_Lm4ENS4_16DefaultPtrTraitsEiEENS_6detail16IndexBoundsCheckILm5EiEESC_Lm5ESD_iEESI_NS6_INS7_ISA_SB_Lm4ESD_iEESH_SB_Lm5ESD_iEEiiiiiiiii,@function
_ZN2at6native12_GLOBAL__N_144conv_depthwise3d_cuda_backward_weight_kernelIffLin1ELin1EEEvN5torch10headeronly6detail27GenericPackedTensorAccessorINS5_14TensorAccessorIN3c108ArrayRefIlEEKT_Lm4ENS4_16DefaultPtrTraitsEiEENS_6detail16IndexBoundsCheckILm5EiEESC_Lm5ESD_iEESI_NS6_INS7_ISA_SB_Lm4ESD_iEESH_SB_Lm5ESD_iEEiiiiiiiii: ; @_ZN2at6native12_GLOBAL__N_144conv_depthwise3d_cuda_backward_weight_kernelIffLin1ELin1EEEvN5torch10headeronly6detail27GenericPackedTensorAccessorINS5_14TensorAccessorIN3c108ArrayRefIlEEKT_Lm4ENS4_16DefaultPtrTraitsEiEENS_6detail16IndexBoundsCheckILm5EiEESC_Lm5ESD_iEESI_NS6_INS7_ISA_SB_Lm4ESD_iEESH_SB_Lm5ESD_iEEiiiiiiiii
; %bb.0:
	s_clause 0x2
	s_load_b128 s[12:15], s[0:1], 0x70
	s_load_b128 s[16:19], s[0:1], 0x3c
	;; [unrolled: 1-line block ×3, first 2 shown]
	s_wait_kmcnt 0x0
	s_cvt_f32_u32 s2, s14
	s_cvt_f32_u32 s3, s13
	s_sub_co_i32 s4, 0, s14
	s_delay_alu instid0(SALU_CYCLE_1) | instskip(NEXT) | instid1(TRANS32_DEP_1)
	v_rcp_iflag_f32_e32 v1, s2
	v_readfirstlane_b32 s2, v1
	v_rcp_iflag_f32_e32 v1, s3
	s_mul_f32 s2, s2, 0x4f7ffffe
	s_wait_alu 0xfffe
	s_delay_alu instid0(SALU_CYCLE_2) | instskip(NEXT) | instid1(TRANS32_DEP_1)
	s_cvt_u32_f32 s2, s2
	v_readfirstlane_b32 s5, v1
	s_wait_alu 0xfffe
	s_delay_alu instid0(SALU_CYCLE_1) | instskip(NEXT) | instid1(SALU_CYCLE_1)
	s_mul_i32 s4, s4, s2
	s_mul_hi_u32 s3, s2, s4
	s_mul_f32 s5, s5, 0x4f7ffffe
	s_wait_alu 0xfffe
	s_add_co_i32 s2, s2, s3
	s_cvt_f32_u32 s3, s12
	s_wait_alu 0xfffe
	s_mul_hi_u32 s2, ttmp9, s2
	s_wait_alu 0xfffe
	s_mul_i32 s4, s2, s14
	s_add_co_i32 s6, s2, 1
	s_sub_co_i32 s4, ttmp9, s4
	v_rcp_iflag_f32_e32 v1, s3
	s_sub_co_i32 s7, s4, s14
	s_cmp_ge_u32 s4, s14
	s_cselect_b32 s2, s6, s2
	s_cselect_b32 s4, s7, s4
	s_wait_alu 0xfffe
	s_add_co_i32 s6, s2, 1
	s_cmp_ge_u32 s4, s14
	s_cvt_u32_f32 s4, s5
	s_cselect_b32 s2, s6, s2
	s_sub_co_i32 s5, 0, s13
	s_delay_alu instid0(SALU_CYCLE_1) | instskip(NEXT) | instid1(SALU_CYCLE_1)
	s_mul_i32 s5, s5, s4
	s_mul_hi_u32 s3, s4, s5
	v_readfirstlane_b32 s5, v1
	s_wait_alu 0xfffe
	s_add_co_i32 s4, s4, s3
	s_delay_alu instid0(SALU_CYCLE_1)
	s_mul_hi_u32 s3, s2, s4
	s_wait_alu 0xfffe
	s_mul_i32 s4, s3, s13
	s_add_co_i32 s6, s3, 1
	s_sub_co_i32 s4, s2, s4
	s_mul_f32 s5, s5, 0x4f7ffffe
	s_sub_co_i32 s7, s4, s13
	s_cmp_ge_u32 s4, s13
	s_cselect_b32 s3, s6, s3
	s_cselect_b32 s4, s7, s4
	s_wait_alu 0xfffe
	s_add_co_i32 s6, s3, 1
	s_cmp_ge_u32 s4, s13
	s_cvt_u32_f32 s4, s5
	s_cselect_b32 s28, s6, s3
	s_sub_co_i32 s3, 0, s12
	s_wait_alu 0xfffe
	s_mul_i32 s3, s3, s4
	s_wait_alu 0xfffe
	s_mul_hi_u32 s3, s4, s3
	s_wait_alu 0xfffe
	s_add_co_i32 s4, s4, s3
	s_delay_alu instid0(SALU_CYCLE_1) | instskip(SKIP_4) | instid1(SALU_CYCLE_1)
	s_mul_hi_u32 s3, s28, s4
	s_wait_alu 0xfffe
	s_mul_i32 s4, s3, s12
	s_add_co_i32 s5, s3, 1
	s_sub_co_i32 s4, s28, s4
	s_sub_co_i32 s6, s4, s12
	s_cmp_ge_u32 s4, s12
	s_cselect_b32 s3, s5, s3
	s_cselect_b32 s4, s6, s4
	s_wait_alu 0xfffe
	s_add_co_i32 s5, s3, 1
	s_cmp_ge_u32 s4, s12
	s_cselect_b32 s31, s5, s3
	s_abs_i32 s3, s16
	s_abs_i32 s6, s20
	s_wait_alu 0xfffe
	s_cvt_f32_u32 s4, s3
	s_sub_co_i32 s5, 0, s3
	s_delay_alu instid0(SALU_CYCLE_2) | instskip(NEXT) | instid1(TRANS32_DEP_1)
	v_rcp_iflag_f32_e32 v1, s4
	v_readfirstlane_b32 s4, v1
	s_mul_f32 s4, s4, 0x4f7ffffe
	s_wait_alu 0xfffe
	s_delay_alu instid0(SALU_CYCLE_2) | instskip(SKIP_1) | instid1(SALU_CYCLE_2)
	s_cvt_u32_f32 s4, s4
	s_wait_alu 0xfffe
	s_mul_i32 s5, s5, s4
	s_wait_alu 0xfffe
	s_mul_hi_u32 s5, s4, s5
	s_wait_alu 0xfffe
	s_add_co_i32 s4, s4, s5
	s_xor_b32 s5, s20, s16
	s_wait_alu 0xfffe
	s_mul_hi_u32 s4, s6, s4
	s_ashr_i32 s5, s5, 31
	s_wait_alu 0xfffe
	s_mul_i32 s7, s4, s3
	s_delay_alu instid0(SALU_CYCLE_1)
	s_sub_co_i32 s6, s6, s7
	s_add_co_i32 s7, s4, 1
	s_sub_co_i32 s8, s6, s3
	s_cmp_ge_u32 s6, s3
	s_cselect_b32 s4, s7, s4
	s_cselect_b32 s6, s8, s6
	s_wait_alu 0xfffe
	s_add_co_i32 s7, s4, 1
	s_cmp_ge_u32 s6, s3
	s_cselect_b32 s3, s7, s4
	s_load_b32 s4, s[0:1], 0x68
	s_xor_b32 s3, s3, s5
	s_wait_alu 0xfffe
	s_sub_co_i32 s20, s3, s5
	s_delay_alu instid0(SALU_CYCLE_1) | instskip(NEXT) | instid1(SALU_CYCLE_1)
	s_abs_i32 s16, s20
	s_cvt_f32_u32 s3, s16
	s_wait_alu 0xfffe
	s_delay_alu instid0(SALU_CYCLE_2) | instskip(SKIP_3) | instid1(TRANS32_DEP_1)
	v_rcp_iflag_f32_e32 v1, s3
	s_mov_b32 s3, 0
	s_wait_kmcnt 0x0
	s_cmp_ge_i32 s31, s4
	v_readfirstlane_b32 s29, v1
	s_cbranch_scc1 .LBB37_28
; %bb.1:
	s_load_b32 s43, s[0:1], 0x38
	s_add_nc_u64 s[34:35], s[0:1], 0x60
	s_load_b32 s30, s[0:1], 0xc4
	s_clause 0x1
	s_load_b128 s[24:27], s[34:35], 0x44
	s_load_b256 s[4:11], s[34:35], 0x24
	v_lshrrev_b32_e32 v6, 5, v0
	v_mov_b32_e32 v8, 0
	s_mul_i32 s14, s2, s14
	s_mul_i32 s13, s28, s13
	;; [unrolled: 1-line block ×3, first 2 shown]
	s_sub_co_i32 s33, ttmp9, s14
	s_sub_co_i32 s40, s2, s13
	s_sub_co_i32 s41, s28, s12
	s_mov_b32 s44, exec_lo
	s_wait_kmcnt 0x0
	s_and_b32 s42, s30, 0xffff
	s_mul_i32 s43, s43, s21
	s_delay_alu instid0(SALU_CYCLE_1)
	v_cmpx_gt_i32_e64 s43, v6
	s_cbranch_execz .LBB37_23
; %bb.2:
	s_mul_f32 s2, s29, 0x4f7ffffe
	s_mul_i32 s25, s41, s25
	s_mov_b32 s45, 0
	v_mov_b32_e32 v7, 0
	s_wait_alu 0xfffe
	s_cvt_u32_f32 s12, s2
	s_sub_co_i32 s2, 0, s16
	s_wait_alu 0xfffe
	s_delay_alu instid0(SALU_CYCLE_1)
	s_mul_i32 s13, s2, s12
	s_abs_i32 s2, s31
	s_mul_hi_u32 s14, s12, s13
	s_mov_b32 s13, s3
	s_add_co_i32 s12, s12, s14
	s_ashr_i32 s14, s20, 31
	s_wait_alu 0xfffe
	s_mul_u64 s[12:13], s[2:3], s[12:13]
	s_ashr_i32 s12, s31, 31
	s_mul_i32 s20, s13, s16
	s_lshr_b32 s3, s42, 5
	s_sub_co_i32 s2, s2, s20
	s_xor_b32 s46, s12, s14
	s_add_co_i32 s12, s13, 1
	s_wait_alu 0xfffe
	s_sub_co_i32 s14, s2, s16
	s_cmp_ge_u32 s2, s16
	s_cselect_b32 s12, s12, s13
	s_cselect_b32 s2, s14, s2
	s_add_co_i32 s13, s12, 1
	s_wait_alu 0xfffe
	s_cmp_ge_u32 s2, s16
	s_cselect_b32 s16, s13, s12
	s_abs_i32 s20, s21
	s_abs_i32 s47, s23
	s_cvt_f32_u32 s2, s20
	s_cvt_f32_u32 s12, s47
	s_sub_co_i32 s13, 0, s20
	s_sub_co_i32 s14, 0, s47
	s_wait_alu 0xfffe
	v_rcp_iflag_f32_e32 v1, s2
	v_rcp_iflag_f32_e32 v2, s12
	s_sub_co_i32 s10, s25, s10
	s_delay_alu instid0(TRANS32_DEP_2) | instskip(NEXT) | instid1(TRANS32_DEP_1)
	v_readfirstlane_b32 s2, v1
	v_readfirstlane_b32 s12, v2
	v_and_b32_e32 v1, 31, v0
	s_mul_f32 s2, s2, 0x4f7ffffe
	s_mul_f32 s12, s12, 0x4f7ffffe
	s_wait_alu 0xfffe
	s_delay_alu instid0(SALU_CYCLE_1) | instskip(NEXT) | instid1(SALU_CYCLE_1)
	s_cvt_u32_f32 s2, s2
	s_cvt_u32_f32 s12, s12
	s_wait_alu 0xfffe
	s_delay_alu instid0(SALU_CYCLE_1) | instskip(NEXT) | instid1(SALU_CYCLE_1)
	s_mul_i32 s13, s13, s2
	s_mul_i32 s14, s14, s12
	s_wait_alu 0xfffe
	s_mul_hi_u32 s13, s2, s13
	s_wait_alu 0xfffe
	s_add_co_i32 s2, s2, s13
	s_mul_hi_u32 s13, s12, s14
	s_wait_alu 0xfffe
	v_mul_hi_u32 v2, v6, s2
	s_add_co_i32 s12, s12, s13
	s_delay_alu instid0(VALU_DEP_1) | instskip(SKIP_1) | instid1(VALU_DEP_2)
	v_mul_lo_u32 v4, v2, s20
	v_add_nc_u32_e32 v8, 1, v2
	v_sub_nc_u32_e32 v4, v6, v4
	s_delay_alu instid0(VALU_DEP_1) | instskip(NEXT) | instid1(VALU_DEP_3)
	v_cmp_le_u32_e32 vcc_lo, s20, v4
	v_cndmask_b32_e32 v2, v2, v8, vcc_lo
	v_subrev_nc_u32_e32 v8, s20, v4
	s_delay_alu instid0(VALU_DEP_1) | instskip(NEXT) | instid1(VALU_DEP_3)
	v_cndmask_b32_e32 v4, v4, v8, vcc_lo
	v_add_nc_u32_e32 v8, 1, v2
	s_delay_alu instid0(VALU_DEP_2) | instskip(SKIP_2) | instid1(VALU_DEP_2)
	v_cmp_le_u32_e32 vcc_lo, s20, v4
	s_ashr_i32 s20, s23, 31
	s_wait_alu 0xfffd
	v_cndmask_b32_e32 v2, v2, v8, vcc_lo
	v_mov_b32_e32 v8, 0
	s_wait_alu 0xfffe
	v_mul_hi_u32 v3, v1, s12
	s_clause 0x3
	s_load_b64 s[36:37], s[0:1], 0x0
	s_load_b96 s[12:14], s[0:1], 0x1c
	s_load_b64 s[38:39], s[0:1], 0x30
	s_load_b96 s[28:30], s[0:1], 0x4c
	s_ashr_i32 s1, s21, 31
	s_delay_alu instid0(VALU_DEP_1) | instskip(SKIP_1) | instid1(VALU_DEP_2)
	v_mul_lo_u32 v5, v3, s47
	v_add_nc_u32_e32 v9, 1, v3
	v_sub_nc_u32_e32 v5, v1, v5
	s_delay_alu instid0(VALU_DEP_1)
	v_cmp_le_u32_e64 s2, s47, v5
	s_wait_kmcnt 0x0
	s_mul_i32 s0, s13, s31
	s_xor_b32 s13, s16, s46
	s_wait_alu 0xfffe
	s_sub_co_i32 s13, s13, s46
	v_cndmask_b32_e64 v3, v3, v9, s2
	v_subrev_nc_u32_e32 v9, s47, v5
	s_wait_alu 0xfffe
	s_mul_i32 s46, s29, s13
	s_delay_alu instid0(VALU_DEP_1)
	v_cndmask_b32_e64 v5, v5, v9, s2
	v_add_nc_u32_e32 v9, 1, v3
	s_mul_i32 s2, s33, s27
	s_wait_alu 0xfffe
	s_sub_co_i32 s16, s2, s24
	v_cmp_le_u32_e32 vcc_lo, s47, v5
	s_ashr_i32 s47, s46, 31
	s_wait_alu 0xfffe
	s_lshl_b64 s[46:47], s[46:47], 2
	s_wait_alu 0xfffd
	v_cndmask_b32_e32 v3, v3, v9, vcc_lo
	v_lshlrev_b32_e32 v9, 2, v1
	v_xor_b32_e32 v2, s1, v2
	s_wait_alu 0xfffe
	s_add_nc_u64 s[38:39], s[38:39], s[46:47]
	v_xor_b32_e32 v3, s20, v3
	s_delay_alu instid0(VALU_DEP_2) | instskip(SKIP_1) | instid1(VALU_DEP_2)
	v_subrev_nc_u32_e32 v10, s1, v2
	s_ashr_i32 s1, s0, 31
	v_subrev_nc_u32_e32 v11, s20, v3
	s_wait_alu 0xfffe
	s_lshl_b64 s[0:1], s[0:1], 2
	v_mul_lo_u32 v2, v10, s21
	s_wait_alu 0xfffe
	s_add_nc_u64 s[36:37], s[36:37], s[0:1]
	s_mul_i32 s0, s40, s26
	v_mul_lo_u32 v3, v11, s23
	s_wait_alu 0xfffe
	s_sub_co_i32 s20, s0, s11
	v_cmp_gt_i32_e32 vcc_lo, s22, v11
	v_sub_nc_u32_e32 v12, v6, v2
	s_delay_alu instid0(VALU_DEP_3)
	v_sub_nc_u32_e32 v13, v1, v3
	s_branch .LBB37_6
.LBB37_3:                               ;   in Loop: Header=BB37_6 Depth=1
	s_or_b32 exec_lo, exec_lo, s24
.LBB37_4:                               ;   in Loop: Header=BB37_6 Depth=1
	s_wait_alu 0xfffe
	s_or_b32 exec_lo, exec_lo, s13
.LBB37_5:                               ;   in Loop: Header=BB37_6 Depth=1
	s_wait_alu 0xfffe
	s_or_b32 exec_lo, exec_lo, s11
	v_add_nc_u32_e32 v6, s3, v6
	v_add_nc_u32_e32 v12, s3, v12
	s_delay_alu instid0(VALU_DEP_2) | instskip(SKIP_1) | instid1(SALU_CYCLE_1)
	v_cmp_le_i32_e64 s0, s43, v6
	s_or_b32 s45, s0, s45
	s_and_not1_b32 exec_lo, exec_lo, s45
	s_cbranch_execz .LBB37_22
.LBB37_6:                               ; =>This Loop Header: Depth=1
                                        ;     Child Loop BB37_8 Depth 2
                                        ;     Child Loop BB37_14 Depth 2
                                        ;       Child Loop BB37_20 Depth 3
	s_mov_b32 s1, exec_lo
	s_delay_alu instid0(VALU_DEP_2)
	v_cmpx_le_i32_e64 s21, v12
	s_cbranch_execz .LBB37_10
; %bb.7:                                ;   in Loop: Header=BB37_6 Depth=1
	s_mov_b32 s2, 0
.LBB37_8:                               ;   Parent Loop BB37_6 Depth=1
                                        ; =>  This Inner Loop Header: Depth=2
	v_subrev_nc_u32_e32 v12, s21, v12
	v_add_nc_u32_e32 v10, 1, v10
	s_delay_alu instid0(VALU_DEP_2)
	v_cmp_gt_i32_e64 s0, s21, v12
	s_wait_alu 0xfffe
	s_or_b32 s2, s0, s2
	s_wait_alu 0xfffe
	s_and_not1_b32 exec_lo, exec_lo, s2
	s_cbranch_execnz .LBB37_8
; %bb.9:                                ;   in Loop: Header=BB37_6 Depth=1
	s_or_b32 exec_lo, exec_lo, s2
.LBB37_10:                              ;   in Loop: Header=BB37_6 Depth=1
	s_wait_alu 0xfffe
	s_or_b32 exec_lo, exec_lo, s1
	v_mad_co_u64_u32 v[1:2], null, v12, s7, s[10:11]
	s_delay_alu instid0(VALU_DEP_1)
	v_cmp_lt_i32_e64 s0, -1, v1
	v_cmp_gt_i32_e64 s1, s17, v1
	s_and_b32 s0, s0, s1
	s_wait_alu 0xfffe
	s_and_saveexec_b32 s11, s0
	s_cbranch_execz .LBB37_5
; %bb.11:                               ;   in Loop: Header=BB37_6 Depth=1
	s_and_saveexec_b32 s13, vcc_lo
	s_cbranch_execz .LBB37_4
; %bb.12:                               ;   in Loop: Header=BB37_6 Depth=1
	v_mul_lo_u32 v2, s12, v10
	v_mul_lo_u32 v4, s28, v10
	;; [unrolled: 1-line block ×4, first 2 shown]
	s_mov_b32 s24, 0
	s_delay_alu instid0(VALU_DEP_4) | instskip(NEXT) | instid1(VALU_DEP_4)
	v_ashrrev_i32_e32 v3, 31, v2
	v_ashrrev_i32_e32 v5, 31, v4
	s_delay_alu instid0(VALU_DEP_4) | instskip(NEXT) | instid1(VALU_DEP_4)
	v_ashrrev_i32_e32 v17, 31, v16
	v_ashrrev_i32_e32 v15, 31, v14
	s_delay_alu instid0(VALU_DEP_4) | instskip(NEXT) | instid1(VALU_DEP_4)
	v_lshlrev_b64_e32 v[1:2], 2, v[2:3]
	v_lshlrev_b64_e32 v[3:4], 2, v[4:5]
	s_delay_alu instid0(VALU_DEP_4) | instskip(NEXT) | instid1(VALU_DEP_4)
	v_lshlrev_b64_e32 v[16:17], 2, v[16:17]
	v_lshlrev_b64_e32 v[14:15], 2, v[14:15]
	s_delay_alu instid0(VALU_DEP_4)
	v_add_co_u32 v1, s0, s36, v1
	s_wait_alu 0xf1ff
	v_add_co_ci_u32_e64 v2, null, s37, v2, s0
	v_add_co_u32 v3, s0, s38, v3
	s_wait_alu 0xf1ff
	v_add_co_ci_u32_e64 v4, null, s39, v4, s0
	;; [unrolled: 3-line block ×5, first 2 shown]
	v_dual_mov_b32 v16, v13 :: v_dual_mov_b32 v17, v11
	s_branch .LBB37_14
.LBB37_13:                              ;   in Loop: Header=BB37_14 Depth=2
	s_wait_alu 0xfffe
	s_or_b32 exec_lo, exec_lo, s1
	v_cmp_le_i32_e64 s0, s22, v17
	v_add_co_u32 v1, s1, 0x80, v1
	s_wait_alu 0xf1ff
	v_add_co_ci_u32_e64 v2, null, 0, v2, s1
	s_wait_loadcnt 0x0
	v_fmac_f32_e32 v8, v18, v5
	s_or_b32 s24, s0, s24
	s_delay_alu instid0(SALU_CYCLE_1)
	s_and_not1_b32 exec_lo, exec_lo, s24
	s_cbranch_execz .LBB37_3
.LBB37_14:                              ;   Parent Loop BB37_6 Depth=1
                                        ; =>  This Loop Header: Depth=2
                                        ;       Child Loop BB37_20 Depth 3
	global_load_b32 v18, v[1:2], off
	v_mad_co_u64_u32 v[3:4], null, v16, s9, s[16:17]
	v_mov_b32_e32 v5, 0
	s_mov_b32 s25, exec_lo
	s_delay_alu instid0(VALU_DEP_2)
	v_cmpx_lt_i32_e32 -1, v3
	s_cbranch_execz .LBB37_18
; %bb.15:                               ;   in Loop: Header=BB37_14 Depth=2
	v_mad_co_u64_u32 v[4:5], null, v17, s8, s[20:21]
	v_cmp_gt_i32_e64 s0, s19, v3
	v_mov_b32_e32 v5, 0
	s_delay_alu instid0(VALU_DEP_3)
	v_cmp_gt_i32_e64 s1, s18, v4
	v_cmp_lt_i32_e64 s2, -1, v4
	s_and_b32 s0, s0, s1
	s_wait_alu 0xfffe
	s_and_b32 s0, s0, s2
	s_wait_alu 0xfffe
	s_and_saveexec_b32 s1, s0
	s_cbranch_execz .LBB37_17
; %bb.16:                               ;   in Loop: Header=BB37_14 Depth=2
	v_mad_co_u64_u32 v[3:4], null, v4, s19, v[3:4]
	v_mov_b32_e32 v4, v7
	s_delay_alu instid0(VALU_DEP_1) | instskip(NEXT) | instid1(VALU_DEP_1)
	v_lshlrev_b64_e32 v[3:4], 2, v[3:4]
	v_add_co_u32 v3, s0, v14, v3
	s_wait_alu 0xf1ff
	s_delay_alu instid0(VALU_DEP_2)
	v_add_co_ci_u32_e64 v4, null, v15, v4, s0
	global_load_b32 v5, v[3:4], off
.LBB37_17:                              ;   in Loop: Header=BB37_14 Depth=2
	s_wait_alu 0xfffe
	s_or_b32 exec_lo, exec_lo, s1
.LBB37_18:                              ;   in Loop: Header=BB37_14 Depth=2
	s_delay_alu instid0(SALU_CYCLE_1) | instskip(SKIP_2) | instid1(VALU_DEP_1)
	s_or_b32 exec_lo, exec_lo, s25
	v_add_nc_u32_e32 v16, 32, v16
	s_mov_b32 s1, exec_lo
	v_cmpx_le_i32_e64 s23, v16
	s_cbranch_execz .LBB37_13
; %bb.19:                               ;   in Loop: Header=BB37_14 Depth=2
	s_mov_b32 s2, 0
.LBB37_20:                              ;   Parent Loop BB37_6 Depth=1
                                        ;     Parent Loop BB37_14 Depth=2
                                        ; =>    This Inner Loop Header: Depth=3
	v_subrev_nc_u32_e32 v16, s23, v16
	v_add_nc_u32_e32 v17, 1, v17
	s_delay_alu instid0(VALU_DEP_2)
	v_cmp_gt_i32_e64 s0, s23, v16
	s_wait_alu 0xfffe
	s_or_b32 s2, s0, s2
	s_wait_alu 0xfffe
	s_and_not1_b32 exec_lo, exec_lo, s2
	s_cbranch_execnz .LBB37_20
; %bb.21:                               ;   in Loop: Header=BB37_14 Depth=2
	s_or_b32 exec_lo, exec_lo, s2
	s_branch .LBB37_13
.LBB37_22:
	s_or_b32 exec_lo, exec_lo, s45
.LBB37_23:
	s_delay_alu instid0(SALU_CYCLE_1)
	s_or_b32 exec_lo, exec_lo, s44
	s_load_b64 s[0:1], s[34:35], 0x0
	v_lshl_add_u32 v1, v0, 2, 0
	s_bcnt1_i32_b32 s2, s42
	s_wait_alu 0xfffe
	s_cmp_lg_u32 s2, 1
	s_mov_b32 s2, -1
	ds_store_b32 v1, v8
	s_wait_dscnt 0x0
	s_barrier_signal -1
	s_barrier_wait -1
	global_inv scope:SCOPE_SE
	s_cbranch_scc1 .LBB37_32
; %bb.24:
	s_wait_alu 0xfffe
	s_and_not1_b32 vcc_lo, exec_lo, s2
	s_wait_alu 0xfffe
	s_cbranch_vccnz .LBB37_28
.LBB37_25:
	s_cmp_lt_u32 s42, 2
	s_cbranch_scc0 .LBB37_30
.LBB37_26:
	s_mov_b32 s2, exec_lo
	v_cmpx_eq_u32_e32 0, v0
	s_cbranch_execz .LBB37_28
; %bb.27:
	v_mov_b32_e32 v0, 0
	s_mul_i32 s2, s15, s31
	s_mul_i32 s8, s4, s41
	s_wait_alu 0xfffe
	s_ashr_i32 s3, s2, 31
	s_ashr_i32 s9, s8, 31
	ds_load_b32 v1, v0
	s_wait_alu 0xfffe
	s_lshl_b64 s[2:3], s[2:3], 2
	s_mul_i32 s4, s5, s40
	s_wait_kmcnt 0x0
	s_wait_alu 0xfffe
	s_add_nc_u64 s[0:1], s[0:1], s[2:3]
	s_lshl_b64 s[2:3], s[8:9], 2
	s_ashr_i32 s5, s4, 31
	s_wait_alu 0xfffe
	s_add_nc_u64 s[0:1], s[0:1], s[2:3]
	s_mul_i32 s2, s6, s33
	s_lshl_b64 s[4:5], s[4:5], 2
	s_wait_alu 0xfffe
	s_ashr_i32 s3, s2, 31
	s_add_nc_u64 s[0:1], s[0:1], s[4:5]
	s_wait_alu 0xfffe
	s_lshl_b64 s[2:3], s[2:3], 2
	s_wait_alu 0xfffe
	s_add_nc_u64 s[0:1], s[0:1], s[2:3]
	s_wait_dscnt 0x0
	global_store_b32 v0, v1, s[0:1]
.LBB37_28:
	s_endpgm
.LBB37_29:                              ;   in Loop: Header=BB37_30 Depth=1
	s_or_b32 exec_lo, exec_lo, s3
	s_cmp_lt_u32 s42, 4
	s_mov_b32 s42, s2
	s_wait_loadcnt_dscnt 0x0
	s_barrier_signal -1
	s_barrier_wait -1
	global_inv scope:SCOPE_SE
	s_cbranch_scc1 .LBB37_26
.LBB37_30:                              ; =>This Inner Loop Header: Depth=1
	s_wait_alu 0xfffe
	s_lshr_b32 s2, s42, 1
	s_mov_b32 s3, exec_lo
	s_wait_alu 0xfffe
	v_cmpx_gt_u32_e64 s2, v0
	s_cbranch_execz .LBB37_29
; %bb.31:                               ;   in Loop: Header=BB37_30 Depth=1
	v_lshl_add_u32 v2, s2, 2, v1
	ds_load_b32 v2, v2
	ds_load_b32 v3, v1
	s_wait_dscnt 0x0
	v_add_f32_e32 v2, v2, v3
	ds_store_b32 v1, v2
	s_branch .LBB37_29
.LBB37_32:
	s_trap 2
	; divergent unreachable
	s_cbranch_execz .LBB37_25
	s_branch .LBB37_28
	.section	.rodata,"a",@progbits
	.p2align	6, 0x0
	.amdhsa_kernel _ZN2at6native12_GLOBAL__N_144conv_depthwise3d_cuda_backward_weight_kernelIffLin1ELin1EEEvN5torch10headeronly6detail27GenericPackedTensorAccessorINS5_14TensorAccessorIN3c108ArrayRefIlEEKT_Lm4ENS4_16DefaultPtrTraitsEiEENS_6detail16IndexBoundsCheckILm5EiEESC_Lm5ESD_iEESI_NS6_INS7_ISA_SB_Lm4ESD_iEESH_SB_Lm5ESD_iEEiiiiiiiii
		.amdhsa_group_segment_fixed_size 0
		.amdhsa_private_segment_fixed_size 0
		.amdhsa_kernarg_size 440
		.amdhsa_user_sgpr_count 2
		.amdhsa_user_sgpr_dispatch_ptr 0
		.amdhsa_user_sgpr_queue_ptr 0
		.amdhsa_user_sgpr_kernarg_segment_ptr 1
		.amdhsa_user_sgpr_dispatch_id 0
		.amdhsa_user_sgpr_private_segment_size 0
		.amdhsa_wavefront_size32 1
		.amdhsa_uses_dynamic_stack 0
		.amdhsa_enable_private_segment 0
		.amdhsa_system_sgpr_workgroup_id_x 1
		.amdhsa_system_sgpr_workgroup_id_y 0
		.amdhsa_system_sgpr_workgroup_id_z 0
		.amdhsa_system_sgpr_workgroup_info 0
		.amdhsa_system_vgpr_workitem_id 0
		.amdhsa_next_free_vgpr 19
		.amdhsa_next_free_sgpr 48
		.amdhsa_reserve_vcc 1
		.amdhsa_float_round_mode_32 0
		.amdhsa_float_round_mode_16_64 0
		.amdhsa_float_denorm_mode_32 3
		.amdhsa_float_denorm_mode_16_64 3
		.amdhsa_fp16_overflow 0
		.amdhsa_workgroup_processor_mode 1
		.amdhsa_memory_ordered 1
		.amdhsa_forward_progress 1
		.amdhsa_inst_pref_size 19
		.amdhsa_round_robin_scheduling 0
		.amdhsa_exception_fp_ieee_invalid_op 0
		.amdhsa_exception_fp_denorm_src 0
		.amdhsa_exception_fp_ieee_div_zero 0
		.amdhsa_exception_fp_ieee_overflow 0
		.amdhsa_exception_fp_ieee_underflow 0
		.amdhsa_exception_fp_ieee_inexact 0
		.amdhsa_exception_int_div_zero 0
	.end_amdhsa_kernel
	.section	.text._ZN2at6native12_GLOBAL__N_144conv_depthwise3d_cuda_backward_weight_kernelIffLin1ELin1EEEvN5torch10headeronly6detail27GenericPackedTensorAccessorINS5_14TensorAccessorIN3c108ArrayRefIlEEKT_Lm4ENS4_16DefaultPtrTraitsEiEENS_6detail16IndexBoundsCheckILm5EiEESC_Lm5ESD_iEESI_NS6_INS7_ISA_SB_Lm4ESD_iEESH_SB_Lm5ESD_iEEiiiiiiiii,"axG",@progbits,_ZN2at6native12_GLOBAL__N_144conv_depthwise3d_cuda_backward_weight_kernelIffLin1ELin1EEEvN5torch10headeronly6detail27GenericPackedTensorAccessorINS5_14TensorAccessorIN3c108ArrayRefIlEEKT_Lm4ENS4_16DefaultPtrTraitsEiEENS_6detail16IndexBoundsCheckILm5EiEESC_Lm5ESD_iEESI_NS6_INS7_ISA_SB_Lm4ESD_iEESH_SB_Lm5ESD_iEEiiiiiiiii,comdat
.Lfunc_end37:
	.size	_ZN2at6native12_GLOBAL__N_144conv_depthwise3d_cuda_backward_weight_kernelIffLin1ELin1EEEvN5torch10headeronly6detail27GenericPackedTensorAccessorINS5_14TensorAccessorIN3c108ArrayRefIlEEKT_Lm4ENS4_16DefaultPtrTraitsEiEENS_6detail16IndexBoundsCheckILm5EiEESC_Lm5ESD_iEESI_NS6_INS7_ISA_SB_Lm4ESD_iEESH_SB_Lm5ESD_iEEiiiiiiiii, .Lfunc_end37-_ZN2at6native12_GLOBAL__N_144conv_depthwise3d_cuda_backward_weight_kernelIffLin1ELin1EEEvN5torch10headeronly6detail27GenericPackedTensorAccessorINS5_14TensorAccessorIN3c108ArrayRefIlEEKT_Lm4ENS4_16DefaultPtrTraitsEiEENS_6detail16IndexBoundsCheckILm5EiEESC_Lm5ESD_iEESI_NS6_INS7_ISA_SB_Lm4ESD_iEESH_SB_Lm5ESD_iEEiiiiiiiii
                                        ; -- End function
	.set _ZN2at6native12_GLOBAL__N_144conv_depthwise3d_cuda_backward_weight_kernelIffLin1ELin1EEEvN5torch10headeronly6detail27GenericPackedTensorAccessorINS5_14TensorAccessorIN3c108ArrayRefIlEEKT_Lm4ENS4_16DefaultPtrTraitsEiEENS_6detail16IndexBoundsCheckILm5EiEESC_Lm5ESD_iEESI_NS6_INS7_ISA_SB_Lm4ESD_iEESH_SB_Lm5ESD_iEEiiiiiiiii.num_vgpr, 19
	.set _ZN2at6native12_GLOBAL__N_144conv_depthwise3d_cuda_backward_weight_kernelIffLin1ELin1EEEvN5torch10headeronly6detail27GenericPackedTensorAccessorINS5_14TensorAccessorIN3c108ArrayRefIlEEKT_Lm4ENS4_16DefaultPtrTraitsEiEENS_6detail16IndexBoundsCheckILm5EiEESC_Lm5ESD_iEESI_NS6_INS7_ISA_SB_Lm4ESD_iEESH_SB_Lm5ESD_iEEiiiiiiiii.num_agpr, 0
	.set _ZN2at6native12_GLOBAL__N_144conv_depthwise3d_cuda_backward_weight_kernelIffLin1ELin1EEEvN5torch10headeronly6detail27GenericPackedTensorAccessorINS5_14TensorAccessorIN3c108ArrayRefIlEEKT_Lm4ENS4_16DefaultPtrTraitsEiEENS_6detail16IndexBoundsCheckILm5EiEESC_Lm5ESD_iEESI_NS6_INS7_ISA_SB_Lm4ESD_iEESH_SB_Lm5ESD_iEEiiiiiiiii.numbered_sgpr, 48
	.set _ZN2at6native12_GLOBAL__N_144conv_depthwise3d_cuda_backward_weight_kernelIffLin1ELin1EEEvN5torch10headeronly6detail27GenericPackedTensorAccessorINS5_14TensorAccessorIN3c108ArrayRefIlEEKT_Lm4ENS4_16DefaultPtrTraitsEiEENS_6detail16IndexBoundsCheckILm5EiEESC_Lm5ESD_iEESI_NS6_INS7_ISA_SB_Lm4ESD_iEESH_SB_Lm5ESD_iEEiiiiiiiii.num_named_barrier, 0
	.set _ZN2at6native12_GLOBAL__N_144conv_depthwise3d_cuda_backward_weight_kernelIffLin1ELin1EEEvN5torch10headeronly6detail27GenericPackedTensorAccessorINS5_14TensorAccessorIN3c108ArrayRefIlEEKT_Lm4ENS4_16DefaultPtrTraitsEiEENS_6detail16IndexBoundsCheckILm5EiEESC_Lm5ESD_iEESI_NS6_INS7_ISA_SB_Lm4ESD_iEESH_SB_Lm5ESD_iEEiiiiiiiii.private_seg_size, 0
	.set _ZN2at6native12_GLOBAL__N_144conv_depthwise3d_cuda_backward_weight_kernelIffLin1ELin1EEEvN5torch10headeronly6detail27GenericPackedTensorAccessorINS5_14TensorAccessorIN3c108ArrayRefIlEEKT_Lm4ENS4_16DefaultPtrTraitsEiEENS_6detail16IndexBoundsCheckILm5EiEESC_Lm5ESD_iEESI_NS6_INS7_ISA_SB_Lm4ESD_iEESH_SB_Lm5ESD_iEEiiiiiiiii.uses_vcc, 1
	.set _ZN2at6native12_GLOBAL__N_144conv_depthwise3d_cuda_backward_weight_kernelIffLin1ELin1EEEvN5torch10headeronly6detail27GenericPackedTensorAccessorINS5_14TensorAccessorIN3c108ArrayRefIlEEKT_Lm4ENS4_16DefaultPtrTraitsEiEENS_6detail16IndexBoundsCheckILm5EiEESC_Lm5ESD_iEESI_NS6_INS7_ISA_SB_Lm4ESD_iEESH_SB_Lm5ESD_iEEiiiiiiiii.uses_flat_scratch, 0
	.set _ZN2at6native12_GLOBAL__N_144conv_depthwise3d_cuda_backward_weight_kernelIffLin1ELin1EEEvN5torch10headeronly6detail27GenericPackedTensorAccessorINS5_14TensorAccessorIN3c108ArrayRefIlEEKT_Lm4ENS4_16DefaultPtrTraitsEiEENS_6detail16IndexBoundsCheckILm5EiEESC_Lm5ESD_iEESI_NS6_INS7_ISA_SB_Lm4ESD_iEESH_SB_Lm5ESD_iEEiiiiiiiii.has_dyn_sized_stack, 0
	.set _ZN2at6native12_GLOBAL__N_144conv_depthwise3d_cuda_backward_weight_kernelIffLin1ELin1EEEvN5torch10headeronly6detail27GenericPackedTensorAccessorINS5_14TensorAccessorIN3c108ArrayRefIlEEKT_Lm4ENS4_16DefaultPtrTraitsEiEENS_6detail16IndexBoundsCheckILm5EiEESC_Lm5ESD_iEESI_NS6_INS7_ISA_SB_Lm4ESD_iEESH_SB_Lm5ESD_iEEiiiiiiiii.has_recursion, 0
	.set _ZN2at6native12_GLOBAL__N_144conv_depthwise3d_cuda_backward_weight_kernelIffLin1ELin1EEEvN5torch10headeronly6detail27GenericPackedTensorAccessorINS5_14TensorAccessorIN3c108ArrayRefIlEEKT_Lm4ENS4_16DefaultPtrTraitsEiEENS_6detail16IndexBoundsCheckILm5EiEESC_Lm5ESD_iEESI_NS6_INS7_ISA_SB_Lm4ESD_iEESH_SB_Lm5ESD_iEEiiiiiiiii.has_indirect_call, 0
	.section	.AMDGPU.csdata,"",@progbits
; Kernel info:
; codeLenInByte = 2364
; TotalNumSgprs: 50
; NumVgprs: 19
; ScratchSize: 0
; MemoryBound: 0
; FloatMode: 240
; IeeeMode: 1
; LDSByteSize: 0 bytes/workgroup (compile time only)
; SGPRBlocks: 0
; VGPRBlocks: 2
; NumSGPRsForWavesPerEU: 50
; NumVGPRsForWavesPerEU: 19
; Occupancy: 16
; WaveLimiterHint : 1
; COMPUTE_PGM_RSRC2:SCRATCH_EN: 0
; COMPUTE_PGM_RSRC2:USER_SGPR: 2
; COMPUTE_PGM_RSRC2:TRAP_HANDLER: 0
; COMPUTE_PGM_RSRC2:TGID_X_EN: 1
; COMPUTE_PGM_RSRC2:TGID_Y_EN: 0
; COMPUTE_PGM_RSRC2:TGID_Z_EN: 0
; COMPUTE_PGM_RSRC2:TIDIG_COMP_CNT: 0
	.section	.text._ZN2at6native12_GLOBAL__N_144conv_depthwise3d_cuda_backward_weight_kernelIN3c104HalfEfLi1ELi1EEEvN5torch10headeronly6detail27GenericPackedTensorAccessorINS7_14TensorAccessorINS3_8ArrayRefIlEEKT_Lm4ENS6_16DefaultPtrTraitsEiEENS_6detail16IndexBoundsCheckILm5EiEESD_Lm5ESE_iEESJ_NS8_INS9_ISB_SC_Lm4ESE_iEESI_SC_Lm5ESE_iEEiiiiiiiii,"axG",@progbits,_ZN2at6native12_GLOBAL__N_144conv_depthwise3d_cuda_backward_weight_kernelIN3c104HalfEfLi1ELi1EEEvN5torch10headeronly6detail27GenericPackedTensorAccessorINS7_14TensorAccessorINS3_8ArrayRefIlEEKT_Lm4ENS6_16DefaultPtrTraitsEiEENS_6detail16IndexBoundsCheckILm5EiEESD_Lm5ESE_iEESJ_NS8_INS9_ISB_SC_Lm4ESE_iEESI_SC_Lm5ESE_iEEiiiiiiiii,comdat
	.globl	_ZN2at6native12_GLOBAL__N_144conv_depthwise3d_cuda_backward_weight_kernelIN3c104HalfEfLi1ELi1EEEvN5torch10headeronly6detail27GenericPackedTensorAccessorINS7_14TensorAccessorINS3_8ArrayRefIlEEKT_Lm4ENS6_16DefaultPtrTraitsEiEENS_6detail16IndexBoundsCheckILm5EiEESD_Lm5ESE_iEESJ_NS8_INS9_ISB_SC_Lm4ESE_iEESI_SC_Lm5ESE_iEEiiiiiiiii ; -- Begin function _ZN2at6native12_GLOBAL__N_144conv_depthwise3d_cuda_backward_weight_kernelIN3c104HalfEfLi1ELi1EEEvN5torch10headeronly6detail27GenericPackedTensorAccessorINS7_14TensorAccessorINS3_8ArrayRefIlEEKT_Lm4ENS6_16DefaultPtrTraitsEiEENS_6detail16IndexBoundsCheckILm5EiEESD_Lm5ESE_iEESJ_NS8_INS9_ISB_SC_Lm4ESE_iEESI_SC_Lm5ESE_iEEiiiiiiiii
	.p2align	8
	.type	_ZN2at6native12_GLOBAL__N_144conv_depthwise3d_cuda_backward_weight_kernelIN3c104HalfEfLi1ELi1EEEvN5torch10headeronly6detail27GenericPackedTensorAccessorINS7_14TensorAccessorINS3_8ArrayRefIlEEKT_Lm4ENS6_16DefaultPtrTraitsEiEENS_6detail16IndexBoundsCheckILm5EiEESD_Lm5ESE_iEESJ_NS8_INS9_ISB_SC_Lm4ESE_iEESI_SC_Lm5ESE_iEEiiiiiiiii,@function
_ZN2at6native12_GLOBAL__N_144conv_depthwise3d_cuda_backward_weight_kernelIN3c104HalfEfLi1ELi1EEEvN5torch10headeronly6detail27GenericPackedTensorAccessorINS7_14TensorAccessorINS3_8ArrayRefIlEEKT_Lm4ENS6_16DefaultPtrTraitsEiEENS_6detail16IndexBoundsCheckILm5EiEESD_Lm5ESE_iEESJ_NS8_INS9_ISB_SC_Lm4ESE_iEESI_SC_Lm5ESE_iEEiiiiiiiii: ; @_ZN2at6native12_GLOBAL__N_144conv_depthwise3d_cuda_backward_weight_kernelIN3c104HalfEfLi1ELi1EEEvN5torch10headeronly6detail27GenericPackedTensorAccessorINS7_14TensorAccessorINS3_8ArrayRefIlEEKT_Lm4ENS6_16DefaultPtrTraitsEiEENS_6detail16IndexBoundsCheckILm5EiEESD_Lm5ESE_iEESJ_NS8_INS9_ISB_SC_Lm4ESE_iEESI_SC_Lm5ESE_iEEiiiiiiiii
; %bb.0:
	s_clause 0x2
	s_load_b128 s[4:7], s[0:1], 0x70
	s_load_b128 s[12:15], s[0:1], 0x3c
	;; [unrolled: 1-line block ×3, first 2 shown]
	s_wait_kmcnt 0x0
	s_cvt_f32_u32 s2, s6
	s_cvt_f32_u32 s3, s5
	s_sub_co_i32 s8, 0, s6
	s_delay_alu instid0(SALU_CYCLE_1) | instskip(NEXT) | instid1(TRANS32_DEP_1)
	v_rcp_iflag_f32_e32 v1, s2
	v_readfirstlane_b32 s2, v1
	v_rcp_iflag_f32_e32 v1, s3
	s_mul_f32 s2, s2, 0x4f7ffffe
	s_wait_alu 0xfffe
	s_delay_alu instid0(SALU_CYCLE_2) | instskip(NEXT) | instid1(TRANS32_DEP_1)
	s_cvt_u32_f32 s2, s2
	v_readfirstlane_b32 s9, v1
	s_wait_alu 0xfffe
	s_delay_alu instid0(SALU_CYCLE_1) | instskip(NEXT) | instid1(SALU_CYCLE_1)
	s_mul_i32 s8, s8, s2
	s_mul_hi_u32 s3, s2, s8
	s_mul_f32 s9, s9, 0x4f7ffffe
	s_wait_alu 0xfffe
	s_add_co_i32 s2, s2, s3
	s_cvt_f32_u32 s3, s4
	s_wait_alu 0xfffe
	s_mul_hi_u32 s2, ttmp9, s2
	s_wait_alu 0xfffe
	s_mul_i32 s8, s2, s6
	s_add_co_i32 s10, s2, 1
	s_sub_co_i32 s8, ttmp9, s8
	v_rcp_iflag_f32_e32 v1, s3
	s_sub_co_i32 s11, s8, s6
	s_cmp_ge_u32 s8, s6
	s_cselect_b32 s2, s10, s2
	s_cselect_b32 s8, s11, s8
	s_wait_alu 0xfffe
	s_add_co_i32 s10, s2, 1
	s_cmp_ge_u32 s8, s6
	s_cvt_u32_f32 s8, s9
	s_cselect_b32 s2, s10, s2
	s_sub_co_i32 s9, 0, s5
	s_delay_alu instid0(SALU_CYCLE_1) | instskip(NEXT) | instid1(SALU_CYCLE_1)
	s_mul_i32 s9, s9, s8
	s_mul_hi_u32 s3, s8, s9
	v_readfirstlane_b32 s9, v1
	s_wait_alu 0xfffe
	s_add_co_i32 s8, s8, s3
	s_delay_alu instid0(SALU_CYCLE_1)
	s_mul_hi_u32 s3, s2, s8
	s_wait_alu 0xfffe
	s_mul_i32 s8, s3, s5
	s_add_co_i32 s10, s3, 1
	s_sub_co_i32 s8, s2, s8
	s_mul_f32 s9, s9, 0x4f7ffffe
	s_sub_co_i32 s11, s8, s5
	s_cmp_ge_u32 s8, s5
	s_cselect_b32 s3, s10, s3
	s_cselect_b32 s8, s11, s8
	s_wait_alu 0xfffe
	s_add_co_i32 s10, s3, 1
	s_cmp_ge_u32 s8, s5
	s_cvt_u32_f32 s8, s9
	s_cselect_b32 s20, s10, s3
	s_sub_co_i32 s3, 0, s4
	s_wait_alu 0xfffe
	s_mul_i32 s3, s3, s8
	s_wait_alu 0xfffe
	s_mul_hi_u32 s3, s8, s3
	s_wait_alu 0xfffe
	s_add_co_i32 s8, s8, s3
	s_delay_alu instid0(SALU_CYCLE_1) | instskip(SKIP_4) | instid1(SALU_CYCLE_1)
	s_mul_hi_u32 s3, s20, s8
	s_wait_alu 0xfffe
	s_mul_i32 s8, s3, s4
	s_add_co_i32 s9, s3, 1
	s_sub_co_i32 s8, s20, s8
	s_sub_co_i32 s10, s8, s4
	s_cmp_ge_u32 s8, s4
	s_cselect_b32 s3, s9, s3
	s_cselect_b32 s8, s10, s8
	s_wait_alu 0xfffe
	s_add_co_i32 s9, s3, 1
	s_cmp_ge_u32 s8, s4
	s_cselect_b32 s27, s9, s3
	s_abs_i32 s3, s12
	s_abs_i32 s10, s16
	s_wait_alu 0xfffe
	s_cvt_f32_u32 s8, s3
	s_sub_co_i32 s9, 0, s3
	s_delay_alu instid0(SALU_CYCLE_2) | instskip(NEXT) | instid1(TRANS32_DEP_1)
	v_rcp_iflag_f32_e32 v1, s8
	v_readfirstlane_b32 s8, v1
	s_mul_f32 s8, s8, 0x4f7ffffe
	s_wait_alu 0xfffe
	s_delay_alu instid0(SALU_CYCLE_2) | instskip(SKIP_1) | instid1(SALU_CYCLE_2)
	s_cvt_u32_f32 s8, s8
	s_wait_alu 0xfffe
	s_mul_i32 s9, s9, s8
	s_wait_alu 0xfffe
	s_mul_hi_u32 s9, s8, s9
	s_wait_alu 0xfffe
	s_add_co_i32 s8, s8, s9
	s_xor_b32 s9, s16, s12
	s_wait_alu 0xfffe
	s_mul_hi_u32 s8, s10, s8
	s_ashr_i32 s9, s9, 31
	s_wait_alu 0xfffe
	s_mul_i32 s11, s8, s3
	s_delay_alu instid0(SALU_CYCLE_1)
	s_sub_co_i32 s10, s10, s11
	s_add_co_i32 s11, s8, 1
	s_sub_co_i32 s12, s10, s3
	s_cmp_ge_u32 s10, s3
	s_cselect_b32 s8, s11, s8
	s_cselect_b32 s10, s12, s10
	s_wait_alu 0xfffe
	s_add_co_i32 s11, s8, 1
	s_cmp_ge_u32 s10, s3
	s_cselect_b32 s3, s11, s8
	s_load_b32 s8, s[0:1], 0x68
	s_xor_b32 s3, s3, s9
	s_wait_alu 0xfffe
	s_sub_co_i32 s21, s3, s9
	s_delay_alu instid0(SALU_CYCLE_1) | instskip(NEXT) | instid1(SALU_CYCLE_1)
	s_abs_i32 s12, s21
	s_cvt_f32_u32 s3, s12
	s_wait_alu 0xfffe
	s_delay_alu instid0(SALU_CYCLE_2) | instskip(SKIP_3) | instid1(TRANS32_DEP_1)
	v_rcp_iflag_f32_e32 v1, s3
	s_mov_b32 s3, 0
	s_wait_kmcnt 0x0
	s_cmp_ge_i32 s27, s8
	v_readfirstlane_b32 s22, v1
	s_cbranch_scc1 .LBB38_28
; %bb.1:
	s_load_b32 s38, s[0:1], 0x38
	s_add_nc_u64 s[28:29], s[0:1], 0x60
	s_load_b32 s23, s[0:1], 0xc4
	s_load_b128 s[8:11], s[28:29], 0x24
	v_lshrrev_b32_e32 v4, 5, v0
	v_mov_b32_e32 v2, 0
	s_mul_i32 s6, s2, s6
	s_mul_i32 s5, s20, s5
	;; [unrolled: 1-line block ×3, first 2 shown]
	s_sub_co_i32 s16, ttmp9, s6
	s_sub_co_i32 s33, s2, s5
	s_sub_co_i32 s36, s20, s4
	s_mov_b32 s39, exec_lo
	s_wait_kmcnt 0x0
	s_mul_i32 s38, s38, s17
	s_and_b32 s37, s23, 0xffff
	v_cmpx_gt_i32_e64 s38, v4
	s_cbranch_execz .LBB38_23
; %bb.2:
	s_mul_f32 s2, s22, 0x4f7ffffe
	s_mov_b32 s40, 0
	s_wait_alu 0xfffe
	s_delay_alu instid0(SALU_CYCLE_1) | instskip(SKIP_2) | instid1(SALU_CYCLE_1)
	s_cvt_u32_f32 s4, s2
	s_sub_co_i32 s2, 0, s12
	s_wait_alu 0xfffe
	s_mul_i32 s5, s2, s4
	s_abs_i32 s2, s27
	s_mul_hi_u32 s6, s4, s5
	s_mov_b32 s5, s3
	s_add_co_i32 s4, s4, s6
	s_ashr_i32 s6, s21, 31
	s_wait_alu 0xfffe
	s_mul_u64 s[4:5], s[2:3], s[4:5]
	s_ashr_i32 s4, s27, 31
	s_mul_i32 s20, s5, s12
	s_lshr_b32 s3, s37, 5
	s_sub_co_i32 s2, s2, s20
	s_xor_b32 s41, s4, s6
	s_add_co_i32 s4, s5, 1
	s_wait_alu 0xfffe
	s_sub_co_i32 s6, s2, s12
	s_cmp_ge_u32 s2, s12
	s_cselect_b32 s4, s4, s5
	s_cselect_b32 s2, s6, s2
	s_add_co_i32 s5, s4, 1
	s_wait_alu 0xfffe
	s_cmp_ge_u32 s2, s12
	s_cselect_b32 s2, s5, s4
	s_abs_i32 s12, s17
	s_abs_i32 s44, s19
	s_cvt_f32_u32 s4, s12
	s_cvt_f32_u32 s5, s44
	s_sub_co_i32 s6, 0, s12
	s_sub_co_i32 s20, 0, s44
	v_rcp_iflag_f32_e32 v1, s4
	v_rcp_iflag_f32_e32 v2, s5
	s_delay_alu instid0(TRANS32_DEP_2) | instskip(NEXT) | instid1(TRANS32_DEP_1)
	v_readfirstlane_b32 s4, v1
	v_readfirstlane_b32 s5, v2
	s_mul_f32 s4, s4, 0x4f7ffffe
	s_mul_f32 s5, s5, 0x4f7ffffe
	s_wait_alu 0xfffe
	s_delay_alu instid0(SALU_CYCLE_1) | instskip(NEXT) | instid1(SALU_CYCLE_1)
	s_cvt_u32_f32 s4, s4
	s_cvt_u32_f32 s5, s5
	s_wait_alu 0xfffe
	s_delay_alu instid0(SALU_CYCLE_1) | instskip(NEXT) | instid1(SALU_CYCLE_1)
	s_mul_i32 s6, s6, s4
	s_mul_i32 s20, s20, s5
	s_mul_hi_u32 s6, s4, s6
	s_delay_alu instid0(SALU_CYCLE_1)
	s_add_co_i32 s4, s4, s6
	s_mul_hi_u32 s6, s5, s20
	s_wait_alu 0xfffe
	v_mul_hi_u32 v2, v4, s4
	v_mov_b32_e32 v5, 0
	s_add_co_i32 s5, s5, s6
	s_clause 0x1
	s_load_b128 s[20:23], s[0:1], 0x9c
	s_load_b64 s[42:43], s[0:1], 0xac
	s_delay_alu instid0(VALU_DEP_2) | instskip(SKIP_1) | instid1(VALU_DEP_2)
	v_mul_lo_u32 v6, v2, s12
	v_add_nc_u32_e32 v8, 1, v2
	v_sub_nc_u32_e32 v9, v4, v6
	s_delay_alu instid0(VALU_DEP_1) | instskip(SKIP_4) | instid1(VALU_DEP_1)
	v_cmp_le_u32_e32 vcc_lo, s12, v9
	s_wait_kmcnt 0x0
	s_mul_i32 s43, s16, s43
	v_cndmask_b32_e32 v2, v2, v8, vcc_lo
	v_subrev_nc_u32_e32 v8, s12, v9
	v_dual_cndmask_b32 v8, v9, v8 :: v_dual_add_nc_u32 v9, 1, v2
	s_delay_alu instid0(VALU_DEP_1) | instskip(SKIP_1) | instid1(VALU_DEP_2)
	v_cmp_le_u32_e32 vcc_lo, s12, v8
	s_wait_alu 0xfffd
	v_dual_cndmask_b32 v2, v2, v9 :: v_dual_and_b32 v1, 31, v0
	s_delay_alu instid0(VALU_DEP_1)
	v_mul_hi_u32 v3, v1, s5
	s_clause 0x3
	s_load_b64 s[30:31], s[0:1], 0x0
	s_load_b96 s[4:6], s[0:1], 0x1c
	s_load_b64 s[34:35], s[0:1], 0x30
	s_load_b96 s[24:26], s[0:1], 0x4c
	s_mul_i32 s1, s36, s23
	s_ashr_i32 s23, s19, 31
	s_sub_co_i32 s12, s1, s20
	s_xor_b32 s1, s2, s41
	v_mul_lo_u32 v7, v3, s44
	s_sub_co_i32 s2, s1, s41
	s_delay_alu instid0(VALU_DEP_1) | instskip(NEXT) | instid1(VALU_DEP_1)
	v_sub_nc_u32_e32 v7, v1, v7
	v_subrev_nc_u32_e32 v10, s44, v7
	v_cmp_le_u32_e64 s0, s44, v7
	s_delay_alu instid0(VALU_DEP_1) | instskip(NEXT) | instid1(VALU_DEP_1)
	v_cndmask_b32_e64 v7, v7, v10, s0
	v_cmp_le_u32_e32 vcc_lo, s44, v7
	v_add_nc_u32_e32 v6, 1, v3
	s_wait_kmcnt 0x0
	s_wait_alu 0xfffe
	s_mul_i32 s44, s25, s2
	s_wait_alu 0xfffe
	s_ashr_i32 s45, s44, 31
	v_cndmask_b32_e64 v3, v3, v6, s0
	s_mul_i32 s0, s5, s27
	s_ashr_i32 s5, s17, 31
	s_wait_alu 0xfffe
	s_ashr_i32 s1, s0, 31
	v_xor_b32_e32 v2, s5, v2
	v_add_nc_u32_e32 v10, 1, v3
	s_wait_alu 0xfffe
	s_lshl_b64 s[0:1], s[0:1], 1
	v_lshlrev_b32_e32 v6, 1, v1
	s_lshl_b64 s[44:45], s[44:45], 1
	v_subrev_nc_u32_e32 v7, s5, v2
	s_wait_alu 0xfffd
	v_dual_cndmask_b32 v3, v3, v10 :: v_dual_mov_b32 v10, 0
	s_wait_alu 0xfffe
	s_add_nc_u64 s[30:31], s[30:31], s[0:1]
	s_mul_i32 s0, s33, s42
	v_mul_lo_u32 v2, v7, s17
	v_xor_b32_e32 v3, s23, v3
	s_add_nc_u64 s[34:35], s[34:35], s[44:45]
	s_sub_co_i32 s5, s43, s22
	s_wait_alu 0xfffe
	s_sub_co_i32 s20, s0, s21
	v_subrev_nc_u32_e32 v8, s23, v3
	s_delay_alu instid0(VALU_DEP_3) | instskip(NEXT) | instid1(VALU_DEP_2)
	v_sub_nc_u32_e32 v9, v4, v2
	v_mul_lo_u32 v3, v8, s19
	v_cmp_gt_i32_e32 vcc_lo, s18, v8
	s_delay_alu instid0(VALU_DEP_2)
	v_sub_nc_u32_e32 v11, v1, v3
	s_branch .LBB38_6
.LBB38_3:                               ;   in Loop: Header=BB38_6 Depth=1
	s_or_b32 exec_lo, exec_lo, s23
.LBB38_4:                               ;   in Loop: Header=BB38_6 Depth=1
	s_wait_alu 0xfffe
	s_or_b32 exec_lo, exec_lo, s22
.LBB38_5:                               ;   in Loop: Header=BB38_6 Depth=1
	s_wait_alu 0xfffe
	s_or_b32 exec_lo, exec_lo, s21
	v_add_nc_u32_e32 v4, s3, v4
	v_add_nc_u32_e32 v9, s3, v9
	s_delay_alu instid0(VALU_DEP_2) | instskip(SKIP_1) | instid1(SALU_CYCLE_1)
	v_cmp_le_i32_e64 s0, s38, v4
	s_or_b32 s40, s0, s40
	s_and_not1_b32 exec_lo, exec_lo, s40
	s_cbranch_execz .LBB38_22
.LBB38_6:                               ; =>This Loop Header: Depth=1
                                        ;     Child Loop BB38_8 Depth 2
                                        ;     Child Loop BB38_14 Depth 2
                                        ;       Child Loop BB38_20 Depth 3
	s_mov_b32 s1, exec_lo
	v_cmpx_le_i32_e64 s17, v9
	s_cbranch_execz .LBB38_10
; %bb.7:                                ;   in Loop: Header=BB38_6 Depth=1
	s_mov_b32 s2, 0
.LBB38_8:                               ;   Parent Loop BB38_6 Depth=1
                                        ; =>  This Inner Loop Header: Depth=2
	v_subrev_nc_u32_e32 v9, s17, v9
	v_add_nc_u32_e32 v7, 1, v7
	s_delay_alu instid0(VALU_DEP_2)
	v_cmp_gt_i32_e64 s0, s17, v9
	s_wait_alu 0xfffe
	s_or_b32 s2, s0, s2
	s_wait_alu 0xfffe
	s_and_not1_b32 exec_lo, exec_lo, s2
	s_cbranch_execnz .LBB38_8
; %bb.9:                                ;   in Loop: Header=BB38_6 Depth=1
	s_or_b32 exec_lo, exec_lo, s2
.LBB38_10:                              ;   in Loop: Header=BB38_6 Depth=1
	s_wait_alu 0xfffe
	s_or_b32 exec_lo, exec_lo, s1
	v_mad_co_u64_u32 v[1:2], null, v9, s11, s[12:13]
	s_delay_alu instid0(VALU_DEP_1)
	v_cmp_lt_i32_e64 s0, -1, v1
	v_cmp_gt_i32_e64 s1, s13, v1
	s_and_b32 s0, s0, s1
	s_wait_alu 0xfffe
	s_and_saveexec_b32 s21, s0
	s_cbranch_execz .LBB38_5
; %bb.11:                               ;   in Loop: Header=BB38_6 Depth=1
	s_and_saveexec_b32 s22, vcc_lo
	s_cbranch_execz .LBB38_4
; %bb.12:                               ;   in Loop: Header=BB38_6 Depth=1
	v_mul_lo_u32 v2, s4, v7
	v_mul_lo_u32 v12, s24, v7
	;; [unrolled: 1-line block ×4, first 2 shown]
	s_mov_b32 s23, 0
	s_delay_alu instid0(VALU_DEP_4) | instskip(NEXT) | instid1(VALU_DEP_4)
	v_ashrrev_i32_e32 v3, 31, v2
	v_ashrrev_i32_e32 v13, 31, v12
	s_delay_alu instid0(VALU_DEP_4) | instskip(NEXT) | instid1(VALU_DEP_4)
	v_ashrrev_i32_e32 v17, 31, v16
	v_ashrrev_i32_e32 v15, 31, v14
	s_delay_alu instid0(VALU_DEP_4) | instskip(NEXT) | instid1(VALU_DEP_4)
	v_lshlrev_b64_e32 v[1:2], 1, v[2:3]
	v_lshlrev_b64_e32 v[12:13], 1, v[12:13]
	s_delay_alu instid0(VALU_DEP_4) | instskip(NEXT) | instid1(VALU_DEP_4)
	v_lshlrev_b64_e32 v[16:17], 1, v[16:17]
	v_lshlrev_b64_e32 v[14:15], 1, v[14:15]
	s_delay_alu instid0(VALU_DEP_4)
	v_add_co_u32 v1, s0, s30, v1
	s_wait_alu 0xf1ff
	v_add_co_ci_u32_e64 v2, null, s31, v2, s0
	v_add_co_u32 v3, s0, s34, v12
	s_wait_alu 0xf1ff
	v_add_co_ci_u32_e64 v13, null, s35, v13, s0
	;; [unrolled: 3-line block ×5, first 2 shown]
	v_dual_mov_b32 v14, v11 :: v_dual_mov_b32 v15, v8
	s_branch .LBB38_14
.LBB38_13:                              ;   in Loop: Header=BB38_14 Depth=2
	s_wait_alu 0xfffe
	s_or_b32 exec_lo, exec_lo, s1
	v_cmp_le_i32_e64 s0, s18, v15
	v_add_co_u32 v1, s1, v1, 64
	s_wait_alu 0xf1ff
	v_add_co_ci_u32_e64 v2, null, 0, v2, s1
	s_wait_loadcnt 0x0
	v_fma_mix_f32 v10, v17, v16, v10 op_sel_hi:[0,1,0]
	s_or_b32 s23, s0, s23
	s_wait_alu 0xfffe
	s_and_not1_b32 exec_lo, exec_lo, s23
	s_cbranch_execz .LBB38_3
.LBB38_14:                              ;   Parent Loop BB38_6 Depth=1
                                        ; =>  This Loop Header: Depth=2
                                        ;       Child Loop BB38_20 Depth 3
	global_load_u16 v16, v[1:2], off
	v_add_nc_u32_e32 v3, s5, v14
	v_mov_b32_e32 v17, 0
	s_mov_b32 s25, exec_lo
	s_delay_alu instid0(VALU_DEP_2)
	v_cmpx_lt_i32_e32 -1, v3
	s_cbranch_execz .LBB38_18
; %bb.15:                               ;   in Loop: Header=BB38_14 Depth=2
	v_dual_mov_b32 v17, 0 :: v_dual_add_nc_u32 v18, s20, v15
	v_cmp_gt_i32_e64 s0, s15, v3
	s_delay_alu instid0(VALU_DEP_2)
	v_cmp_gt_i32_e64 s1, s14, v18
	v_cmp_lt_i32_e64 s2, -1, v18
	s_and_b32 s0, s0, s1
	s_wait_alu 0xfffe
	s_and_b32 s0, s0, s2
	s_wait_alu 0xfffe
	s_and_saveexec_b32 s1, s0
	s_cbranch_execz .LBB38_17
; %bb.16:                               ;   in Loop: Header=BB38_14 Depth=2
	v_mad_co_u64_u32 v[17:18], null, v18, s15, v[3:4]
	v_mov_b32_e32 v18, v5
	s_delay_alu instid0(VALU_DEP_1) | instskip(NEXT) | instid1(VALU_DEP_1)
	v_lshlrev_b64_e32 v[17:18], 1, v[17:18]
	v_add_co_u32 v17, s0, v12, v17
	s_wait_alu 0xf1ff
	s_delay_alu instid0(VALU_DEP_2)
	v_add_co_ci_u32_e64 v18, null, v13, v18, s0
	global_load_u16 v3, v[17:18], off
	s_wait_loadcnt 0x0
	v_cvt_f32_f16_e32 v17, v3
.LBB38_17:                              ;   in Loop: Header=BB38_14 Depth=2
	s_wait_alu 0xfffe
	s_or_b32 exec_lo, exec_lo, s1
.LBB38_18:                              ;   in Loop: Header=BB38_14 Depth=2
	s_wait_alu 0xfffe
	s_or_b32 exec_lo, exec_lo, s25
	v_add_nc_u32_e32 v14, 32, v14
	s_mov_b32 s1, exec_lo
	s_delay_alu instid0(VALU_DEP_1)
	v_cmpx_le_i32_e64 s19, v14
	s_cbranch_execz .LBB38_13
; %bb.19:                               ;   in Loop: Header=BB38_14 Depth=2
	s_mov_b32 s2, 0
.LBB38_20:                              ;   Parent Loop BB38_6 Depth=1
                                        ;     Parent Loop BB38_14 Depth=2
                                        ; =>    This Inner Loop Header: Depth=3
	v_subrev_nc_u32_e32 v14, s19, v14
	v_add_nc_u32_e32 v15, 1, v15
	s_delay_alu instid0(VALU_DEP_2)
	v_cmp_gt_i32_e64 s0, s19, v14
	s_wait_alu 0xfffe
	s_or_b32 s2, s0, s2
	s_wait_alu 0xfffe
	s_and_not1_b32 exec_lo, exec_lo, s2
	s_cbranch_execnz .LBB38_20
; %bb.21:                               ;   in Loop: Header=BB38_14 Depth=2
	s_or_b32 exec_lo, exec_lo, s2
	s_branch .LBB38_13
.LBB38_22:
	s_or_b32 exec_lo, exec_lo, s40
	v_cvt_f16_f32_e32 v2, v10
.LBB38_23:
	s_or_b32 exec_lo, exec_lo, s39
	s_load_b64 s[0:1], s[28:29], 0x0
	v_lshl_add_u32 v1, v0, 1, 0
	s_bcnt1_i32_b32 s2, s37
	s_wait_alu 0xfffe
	s_cmp_lg_u32 s2, 1
	s_mov_b32 s2, -1
	ds_store_b16 v1, v2
	s_wait_dscnt 0x0
	s_barrier_signal -1
	s_barrier_wait -1
	global_inv scope:SCOPE_SE
	s_cbranch_scc1 .LBB38_32
; %bb.24:
	s_wait_alu 0xfffe
	s_and_not1_b32 vcc_lo, exec_lo, s2
	s_wait_alu 0xfffe
	s_cbranch_vccnz .LBB38_28
.LBB38_25:
	s_cmp_lt_u32 s37, 2
	s_cbranch_scc0 .LBB38_30
.LBB38_26:
	s_mov_b32 s2, exec_lo
	v_cmpx_eq_u32_e32 0, v0
	s_cbranch_execz .LBB38_28
; %bb.27:
	v_mov_b32_e32 v0, 0
	s_mul_i32 s2, s7, s27
	s_mul_i32 s4, s8, s36
	s_wait_alu 0xfffe
	s_ashr_i32 s3, s2, 31
	s_ashr_i32 s5, s4, 31
	ds_load_u16 v1, v0
	s_wait_alu 0xfffe
	s_lshl_b64 s[2:3], s[2:3], 1
	s_wait_kmcnt 0x0
	s_wait_alu 0xfffe
	s_add_nc_u64 s[0:1], s[0:1], s[2:3]
	s_lshl_b64 s[2:3], s[4:5], 1
	s_mul_i32 s4, s9, s33
	s_wait_alu 0xfffe
	s_add_nc_u64 s[0:1], s[0:1], s[2:3]
	s_ashr_i32 s5, s4, 31
	s_mul_i32 s2, s10, s16
	s_wait_alu 0xfffe
	s_lshl_b64 s[4:5], s[4:5], 1
	s_ashr_i32 s3, s2, 31
	s_wait_alu 0xfffe
	s_add_nc_u64 s[0:1], s[0:1], s[4:5]
	s_lshl_b64 s[2:3], s[2:3], 1
	s_wait_alu 0xfffe
	s_add_nc_u64 s[0:1], s[0:1], s[2:3]
	s_wait_dscnt 0x0
	global_store_b16 v0, v1, s[0:1]
.LBB38_28:
	s_endpgm
.LBB38_29:                              ;   in Loop: Header=BB38_30 Depth=1
	s_or_b32 exec_lo, exec_lo, s3
	s_cmp_lt_u32 s37, 4
	s_mov_b32 s37, s2
	s_wait_loadcnt_dscnt 0x0
	s_barrier_signal -1
	s_barrier_wait -1
	global_inv scope:SCOPE_SE
	s_cbranch_scc1 .LBB38_26
.LBB38_30:                              ; =>This Inner Loop Header: Depth=1
	s_lshr_b32 s2, s37, 1
	s_mov_b32 s3, exec_lo
	s_wait_alu 0xfffe
	v_cmpx_gt_u32_e64 s2, v0
	s_cbranch_execz .LBB38_29
; %bb.31:                               ;   in Loop: Header=BB38_30 Depth=1
	v_lshl_add_u32 v2, s2, 1, v1
	ds_load_u16 v2, v2
	ds_load_u16 v3, v1
	s_wait_dscnt 0x0
	v_add_f16_e32 v2, v2, v3
	ds_store_b16 v1, v2
	s_branch .LBB38_29
.LBB38_32:
	s_trap 2
	; divergent unreachable
	s_cbranch_execz .LBB38_25
	s_branch .LBB38_28
	.section	.rodata,"a",@progbits
	.p2align	6, 0x0
	.amdhsa_kernel _ZN2at6native12_GLOBAL__N_144conv_depthwise3d_cuda_backward_weight_kernelIN3c104HalfEfLi1ELi1EEEvN5torch10headeronly6detail27GenericPackedTensorAccessorINS7_14TensorAccessorINS3_8ArrayRefIlEEKT_Lm4ENS6_16DefaultPtrTraitsEiEENS_6detail16IndexBoundsCheckILm5EiEESD_Lm5ESE_iEESJ_NS8_INS9_ISB_SC_Lm4ESE_iEESI_SC_Lm5ESE_iEEiiiiiiiii
		.amdhsa_group_segment_fixed_size 0
		.amdhsa_private_segment_fixed_size 0
		.amdhsa_kernarg_size 440
		.amdhsa_user_sgpr_count 2
		.amdhsa_user_sgpr_dispatch_ptr 0
		.amdhsa_user_sgpr_queue_ptr 0
		.amdhsa_user_sgpr_kernarg_segment_ptr 1
		.amdhsa_user_sgpr_dispatch_id 0
		.amdhsa_user_sgpr_private_segment_size 0
		.amdhsa_wavefront_size32 1
		.amdhsa_uses_dynamic_stack 0
		.amdhsa_enable_private_segment 0
		.amdhsa_system_sgpr_workgroup_id_x 1
		.amdhsa_system_sgpr_workgroup_id_y 0
		.amdhsa_system_sgpr_workgroup_id_z 0
		.amdhsa_system_sgpr_workgroup_info 0
		.amdhsa_system_vgpr_workitem_id 0
		.amdhsa_next_free_vgpr 19
		.amdhsa_next_free_sgpr 46
		.amdhsa_reserve_vcc 1
		.amdhsa_float_round_mode_32 0
		.amdhsa_float_round_mode_16_64 0
		.amdhsa_float_denorm_mode_32 3
		.amdhsa_float_denorm_mode_16_64 3
		.amdhsa_fp16_overflow 0
		.amdhsa_workgroup_processor_mode 1
		.amdhsa_memory_ordered 1
		.amdhsa_forward_progress 1
		.amdhsa_inst_pref_size 19
		.amdhsa_round_robin_scheduling 0
		.amdhsa_exception_fp_ieee_invalid_op 0
		.amdhsa_exception_fp_denorm_src 0
		.amdhsa_exception_fp_ieee_div_zero 0
		.amdhsa_exception_fp_ieee_overflow 0
		.amdhsa_exception_fp_ieee_underflow 0
		.amdhsa_exception_fp_ieee_inexact 0
		.amdhsa_exception_int_div_zero 0
	.end_amdhsa_kernel
	.section	.text._ZN2at6native12_GLOBAL__N_144conv_depthwise3d_cuda_backward_weight_kernelIN3c104HalfEfLi1ELi1EEEvN5torch10headeronly6detail27GenericPackedTensorAccessorINS7_14TensorAccessorINS3_8ArrayRefIlEEKT_Lm4ENS6_16DefaultPtrTraitsEiEENS_6detail16IndexBoundsCheckILm5EiEESD_Lm5ESE_iEESJ_NS8_INS9_ISB_SC_Lm4ESE_iEESI_SC_Lm5ESE_iEEiiiiiiiii,"axG",@progbits,_ZN2at6native12_GLOBAL__N_144conv_depthwise3d_cuda_backward_weight_kernelIN3c104HalfEfLi1ELi1EEEvN5torch10headeronly6detail27GenericPackedTensorAccessorINS7_14TensorAccessorINS3_8ArrayRefIlEEKT_Lm4ENS6_16DefaultPtrTraitsEiEENS_6detail16IndexBoundsCheckILm5EiEESD_Lm5ESE_iEESJ_NS8_INS9_ISB_SC_Lm4ESE_iEESI_SC_Lm5ESE_iEEiiiiiiiii,comdat
.Lfunc_end38:
	.size	_ZN2at6native12_GLOBAL__N_144conv_depthwise3d_cuda_backward_weight_kernelIN3c104HalfEfLi1ELi1EEEvN5torch10headeronly6detail27GenericPackedTensorAccessorINS7_14TensorAccessorINS3_8ArrayRefIlEEKT_Lm4ENS6_16DefaultPtrTraitsEiEENS_6detail16IndexBoundsCheckILm5EiEESD_Lm5ESE_iEESJ_NS8_INS9_ISB_SC_Lm4ESE_iEESI_SC_Lm5ESE_iEEiiiiiiiii, .Lfunc_end38-_ZN2at6native12_GLOBAL__N_144conv_depthwise3d_cuda_backward_weight_kernelIN3c104HalfEfLi1ELi1EEEvN5torch10headeronly6detail27GenericPackedTensorAccessorINS7_14TensorAccessorINS3_8ArrayRefIlEEKT_Lm4ENS6_16DefaultPtrTraitsEiEENS_6detail16IndexBoundsCheckILm5EiEESD_Lm5ESE_iEESJ_NS8_INS9_ISB_SC_Lm4ESE_iEESI_SC_Lm5ESE_iEEiiiiiiiii
                                        ; -- End function
	.set _ZN2at6native12_GLOBAL__N_144conv_depthwise3d_cuda_backward_weight_kernelIN3c104HalfEfLi1ELi1EEEvN5torch10headeronly6detail27GenericPackedTensorAccessorINS7_14TensorAccessorINS3_8ArrayRefIlEEKT_Lm4ENS6_16DefaultPtrTraitsEiEENS_6detail16IndexBoundsCheckILm5EiEESD_Lm5ESE_iEESJ_NS8_INS9_ISB_SC_Lm4ESE_iEESI_SC_Lm5ESE_iEEiiiiiiiii.num_vgpr, 19
	.set _ZN2at6native12_GLOBAL__N_144conv_depthwise3d_cuda_backward_weight_kernelIN3c104HalfEfLi1ELi1EEEvN5torch10headeronly6detail27GenericPackedTensorAccessorINS7_14TensorAccessorINS3_8ArrayRefIlEEKT_Lm4ENS6_16DefaultPtrTraitsEiEENS_6detail16IndexBoundsCheckILm5EiEESD_Lm5ESE_iEESJ_NS8_INS9_ISB_SC_Lm4ESE_iEESI_SC_Lm5ESE_iEEiiiiiiiii.num_agpr, 0
	.set _ZN2at6native12_GLOBAL__N_144conv_depthwise3d_cuda_backward_weight_kernelIN3c104HalfEfLi1ELi1EEEvN5torch10headeronly6detail27GenericPackedTensorAccessorINS7_14TensorAccessorINS3_8ArrayRefIlEEKT_Lm4ENS6_16DefaultPtrTraitsEiEENS_6detail16IndexBoundsCheckILm5EiEESD_Lm5ESE_iEESJ_NS8_INS9_ISB_SC_Lm4ESE_iEESI_SC_Lm5ESE_iEEiiiiiiiii.numbered_sgpr, 46
	.set _ZN2at6native12_GLOBAL__N_144conv_depthwise3d_cuda_backward_weight_kernelIN3c104HalfEfLi1ELi1EEEvN5torch10headeronly6detail27GenericPackedTensorAccessorINS7_14TensorAccessorINS3_8ArrayRefIlEEKT_Lm4ENS6_16DefaultPtrTraitsEiEENS_6detail16IndexBoundsCheckILm5EiEESD_Lm5ESE_iEESJ_NS8_INS9_ISB_SC_Lm4ESE_iEESI_SC_Lm5ESE_iEEiiiiiiiii.num_named_barrier, 0
	.set _ZN2at6native12_GLOBAL__N_144conv_depthwise3d_cuda_backward_weight_kernelIN3c104HalfEfLi1ELi1EEEvN5torch10headeronly6detail27GenericPackedTensorAccessorINS7_14TensorAccessorINS3_8ArrayRefIlEEKT_Lm4ENS6_16DefaultPtrTraitsEiEENS_6detail16IndexBoundsCheckILm5EiEESD_Lm5ESE_iEESJ_NS8_INS9_ISB_SC_Lm4ESE_iEESI_SC_Lm5ESE_iEEiiiiiiiii.private_seg_size, 0
	.set _ZN2at6native12_GLOBAL__N_144conv_depthwise3d_cuda_backward_weight_kernelIN3c104HalfEfLi1ELi1EEEvN5torch10headeronly6detail27GenericPackedTensorAccessorINS7_14TensorAccessorINS3_8ArrayRefIlEEKT_Lm4ENS6_16DefaultPtrTraitsEiEENS_6detail16IndexBoundsCheckILm5EiEESD_Lm5ESE_iEESJ_NS8_INS9_ISB_SC_Lm4ESE_iEESI_SC_Lm5ESE_iEEiiiiiiiii.uses_vcc, 1
	.set _ZN2at6native12_GLOBAL__N_144conv_depthwise3d_cuda_backward_weight_kernelIN3c104HalfEfLi1ELi1EEEvN5torch10headeronly6detail27GenericPackedTensorAccessorINS7_14TensorAccessorINS3_8ArrayRefIlEEKT_Lm4ENS6_16DefaultPtrTraitsEiEENS_6detail16IndexBoundsCheckILm5EiEESD_Lm5ESE_iEESJ_NS8_INS9_ISB_SC_Lm4ESE_iEESI_SC_Lm5ESE_iEEiiiiiiiii.uses_flat_scratch, 0
	.set _ZN2at6native12_GLOBAL__N_144conv_depthwise3d_cuda_backward_weight_kernelIN3c104HalfEfLi1ELi1EEEvN5torch10headeronly6detail27GenericPackedTensorAccessorINS7_14TensorAccessorINS3_8ArrayRefIlEEKT_Lm4ENS6_16DefaultPtrTraitsEiEENS_6detail16IndexBoundsCheckILm5EiEESD_Lm5ESE_iEESJ_NS8_INS9_ISB_SC_Lm4ESE_iEESI_SC_Lm5ESE_iEEiiiiiiiii.has_dyn_sized_stack, 0
	.set _ZN2at6native12_GLOBAL__N_144conv_depthwise3d_cuda_backward_weight_kernelIN3c104HalfEfLi1ELi1EEEvN5torch10headeronly6detail27GenericPackedTensorAccessorINS7_14TensorAccessorINS3_8ArrayRefIlEEKT_Lm4ENS6_16DefaultPtrTraitsEiEENS_6detail16IndexBoundsCheckILm5EiEESD_Lm5ESE_iEESJ_NS8_INS9_ISB_SC_Lm4ESE_iEESI_SC_Lm5ESE_iEEiiiiiiiii.has_recursion, 0
	.set _ZN2at6native12_GLOBAL__N_144conv_depthwise3d_cuda_backward_weight_kernelIN3c104HalfEfLi1ELi1EEEvN5torch10headeronly6detail27GenericPackedTensorAccessorINS7_14TensorAccessorINS3_8ArrayRefIlEEKT_Lm4ENS6_16DefaultPtrTraitsEiEENS_6detail16IndexBoundsCheckILm5EiEESD_Lm5ESE_iEESJ_NS8_INS9_ISB_SC_Lm4ESE_iEESI_SC_Lm5ESE_iEEiiiiiiiii.has_indirect_call, 0
	.section	.AMDGPU.csdata,"",@progbits
; Kernel info:
; codeLenInByte = 2344
; TotalNumSgprs: 48
; NumVgprs: 19
; ScratchSize: 0
; MemoryBound: 0
; FloatMode: 240
; IeeeMode: 1
; LDSByteSize: 0 bytes/workgroup (compile time only)
; SGPRBlocks: 0
; VGPRBlocks: 2
; NumSGPRsForWavesPerEU: 48
; NumVGPRsForWavesPerEU: 19
; Occupancy: 16
; WaveLimiterHint : 1
; COMPUTE_PGM_RSRC2:SCRATCH_EN: 0
; COMPUTE_PGM_RSRC2:USER_SGPR: 2
; COMPUTE_PGM_RSRC2:TRAP_HANDLER: 0
; COMPUTE_PGM_RSRC2:TGID_X_EN: 1
; COMPUTE_PGM_RSRC2:TGID_Y_EN: 0
; COMPUTE_PGM_RSRC2:TGID_Z_EN: 0
; COMPUTE_PGM_RSRC2:TIDIG_COMP_CNT: 0
	.section	.text._ZN2at6native12_GLOBAL__N_144conv_depthwise3d_cuda_backward_weight_kernelIN3c104HalfEfLi2ELi2EEEvN5torch10headeronly6detail27GenericPackedTensorAccessorINS7_14TensorAccessorINS3_8ArrayRefIlEEKT_Lm4ENS6_16DefaultPtrTraitsEiEENS_6detail16IndexBoundsCheckILm5EiEESD_Lm5ESE_iEESJ_NS8_INS9_ISB_SC_Lm4ESE_iEESI_SC_Lm5ESE_iEEiiiiiiiii,"axG",@progbits,_ZN2at6native12_GLOBAL__N_144conv_depthwise3d_cuda_backward_weight_kernelIN3c104HalfEfLi2ELi2EEEvN5torch10headeronly6detail27GenericPackedTensorAccessorINS7_14TensorAccessorINS3_8ArrayRefIlEEKT_Lm4ENS6_16DefaultPtrTraitsEiEENS_6detail16IndexBoundsCheckILm5EiEESD_Lm5ESE_iEESJ_NS8_INS9_ISB_SC_Lm4ESE_iEESI_SC_Lm5ESE_iEEiiiiiiiii,comdat
	.globl	_ZN2at6native12_GLOBAL__N_144conv_depthwise3d_cuda_backward_weight_kernelIN3c104HalfEfLi2ELi2EEEvN5torch10headeronly6detail27GenericPackedTensorAccessorINS7_14TensorAccessorINS3_8ArrayRefIlEEKT_Lm4ENS6_16DefaultPtrTraitsEiEENS_6detail16IndexBoundsCheckILm5EiEESD_Lm5ESE_iEESJ_NS8_INS9_ISB_SC_Lm4ESE_iEESI_SC_Lm5ESE_iEEiiiiiiiii ; -- Begin function _ZN2at6native12_GLOBAL__N_144conv_depthwise3d_cuda_backward_weight_kernelIN3c104HalfEfLi2ELi2EEEvN5torch10headeronly6detail27GenericPackedTensorAccessorINS7_14TensorAccessorINS3_8ArrayRefIlEEKT_Lm4ENS6_16DefaultPtrTraitsEiEENS_6detail16IndexBoundsCheckILm5EiEESD_Lm5ESE_iEESJ_NS8_INS9_ISB_SC_Lm4ESE_iEESI_SC_Lm5ESE_iEEiiiiiiiii
	.p2align	8
	.type	_ZN2at6native12_GLOBAL__N_144conv_depthwise3d_cuda_backward_weight_kernelIN3c104HalfEfLi2ELi2EEEvN5torch10headeronly6detail27GenericPackedTensorAccessorINS7_14TensorAccessorINS3_8ArrayRefIlEEKT_Lm4ENS6_16DefaultPtrTraitsEiEENS_6detail16IndexBoundsCheckILm5EiEESD_Lm5ESE_iEESJ_NS8_INS9_ISB_SC_Lm4ESE_iEESI_SC_Lm5ESE_iEEiiiiiiiii,@function
_ZN2at6native12_GLOBAL__N_144conv_depthwise3d_cuda_backward_weight_kernelIN3c104HalfEfLi2ELi2EEEvN5torch10headeronly6detail27GenericPackedTensorAccessorINS7_14TensorAccessorINS3_8ArrayRefIlEEKT_Lm4ENS6_16DefaultPtrTraitsEiEENS_6detail16IndexBoundsCheckILm5EiEESD_Lm5ESE_iEESJ_NS8_INS9_ISB_SC_Lm4ESE_iEESI_SC_Lm5ESE_iEEiiiiiiiii: ; @_ZN2at6native12_GLOBAL__N_144conv_depthwise3d_cuda_backward_weight_kernelIN3c104HalfEfLi2ELi2EEEvN5torch10headeronly6detail27GenericPackedTensorAccessorINS7_14TensorAccessorINS3_8ArrayRefIlEEKT_Lm4ENS6_16DefaultPtrTraitsEiEENS_6detail16IndexBoundsCheckILm5EiEESD_Lm5ESE_iEESJ_NS8_INS9_ISB_SC_Lm4ESE_iEESI_SC_Lm5ESE_iEEiiiiiiiii
; %bb.0:
	s_clause 0x2
	s_load_b128 s[4:7], s[0:1], 0x70
	s_load_b128 s[12:15], s[0:1], 0x3c
	;; [unrolled: 1-line block ×3, first 2 shown]
	s_wait_kmcnt 0x0
	s_cvt_f32_u32 s2, s6
	s_cvt_f32_u32 s3, s5
	s_sub_co_i32 s8, 0, s6
	s_delay_alu instid0(SALU_CYCLE_1) | instskip(NEXT) | instid1(TRANS32_DEP_1)
	v_rcp_iflag_f32_e32 v1, s2
	v_readfirstlane_b32 s2, v1
	v_rcp_iflag_f32_e32 v1, s3
	s_mul_f32 s2, s2, 0x4f7ffffe
	s_wait_alu 0xfffe
	s_delay_alu instid0(SALU_CYCLE_2) | instskip(NEXT) | instid1(TRANS32_DEP_1)
	s_cvt_u32_f32 s2, s2
	v_readfirstlane_b32 s9, v1
	s_wait_alu 0xfffe
	s_delay_alu instid0(SALU_CYCLE_1) | instskip(NEXT) | instid1(SALU_CYCLE_1)
	s_mul_i32 s8, s8, s2
	s_mul_hi_u32 s3, s2, s8
	s_mul_f32 s9, s9, 0x4f7ffffe
	s_wait_alu 0xfffe
	s_add_co_i32 s2, s2, s3
	s_cvt_f32_u32 s3, s4
	s_wait_alu 0xfffe
	s_mul_hi_u32 s2, ttmp9, s2
	s_wait_alu 0xfffe
	s_mul_i32 s8, s2, s6
	s_add_co_i32 s10, s2, 1
	s_sub_co_i32 s8, ttmp9, s8
	v_rcp_iflag_f32_e32 v1, s3
	s_sub_co_i32 s11, s8, s6
	s_cmp_ge_u32 s8, s6
	s_cselect_b32 s2, s10, s2
	s_cselect_b32 s8, s11, s8
	s_wait_alu 0xfffe
	s_add_co_i32 s10, s2, 1
	s_cmp_ge_u32 s8, s6
	s_cvt_u32_f32 s8, s9
	s_cselect_b32 s2, s10, s2
	s_sub_co_i32 s9, 0, s5
	s_delay_alu instid0(SALU_CYCLE_1) | instskip(NEXT) | instid1(SALU_CYCLE_1)
	s_mul_i32 s9, s9, s8
	s_mul_hi_u32 s3, s8, s9
	v_readfirstlane_b32 s9, v1
	s_wait_alu 0xfffe
	s_add_co_i32 s8, s8, s3
	s_delay_alu instid0(SALU_CYCLE_1)
	s_mul_hi_u32 s3, s2, s8
	s_wait_alu 0xfffe
	s_mul_i32 s8, s3, s5
	s_add_co_i32 s10, s3, 1
	s_sub_co_i32 s8, s2, s8
	s_mul_f32 s9, s9, 0x4f7ffffe
	s_sub_co_i32 s11, s8, s5
	s_cmp_ge_u32 s8, s5
	s_cselect_b32 s3, s10, s3
	s_cselect_b32 s8, s11, s8
	s_wait_alu 0xfffe
	s_add_co_i32 s10, s3, 1
	s_cmp_ge_u32 s8, s5
	s_cvt_u32_f32 s8, s9
	s_cselect_b32 s20, s10, s3
	s_sub_co_i32 s3, 0, s4
	s_wait_alu 0xfffe
	s_mul_i32 s3, s3, s8
	s_wait_alu 0xfffe
	s_mul_hi_u32 s3, s8, s3
	s_wait_alu 0xfffe
	s_add_co_i32 s8, s8, s3
	s_delay_alu instid0(SALU_CYCLE_1) | instskip(SKIP_4) | instid1(SALU_CYCLE_1)
	s_mul_hi_u32 s3, s20, s8
	s_wait_alu 0xfffe
	s_mul_i32 s8, s3, s4
	s_add_co_i32 s9, s3, 1
	s_sub_co_i32 s8, s20, s8
	s_sub_co_i32 s10, s8, s4
	s_cmp_ge_u32 s8, s4
	s_cselect_b32 s3, s9, s3
	s_cselect_b32 s8, s10, s8
	s_wait_alu 0xfffe
	s_add_co_i32 s9, s3, 1
	s_cmp_ge_u32 s8, s4
	s_cselect_b32 s27, s9, s3
	s_abs_i32 s3, s12
	s_abs_i32 s10, s16
	s_wait_alu 0xfffe
	s_cvt_f32_u32 s8, s3
	s_sub_co_i32 s9, 0, s3
	s_delay_alu instid0(SALU_CYCLE_2) | instskip(NEXT) | instid1(TRANS32_DEP_1)
	v_rcp_iflag_f32_e32 v1, s8
	v_readfirstlane_b32 s8, v1
	s_mul_f32 s8, s8, 0x4f7ffffe
	s_wait_alu 0xfffe
	s_delay_alu instid0(SALU_CYCLE_2) | instskip(SKIP_1) | instid1(SALU_CYCLE_2)
	s_cvt_u32_f32 s8, s8
	s_wait_alu 0xfffe
	s_mul_i32 s9, s9, s8
	s_wait_alu 0xfffe
	s_mul_hi_u32 s9, s8, s9
	s_wait_alu 0xfffe
	s_add_co_i32 s8, s8, s9
	s_xor_b32 s9, s16, s12
	s_wait_alu 0xfffe
	s_mul_hi_u32 s8, s10, s8
	s_ashr_i32 s9, s9, 31
	s_wait_alu 0xfffe
	s_mul_i32 s11, s8, s3
	s_delay_alu instid0(SALU_CYCLE_1)
	s_sub_co_i32 s10, s10, s11
	s_add_co_i32 s11, s8, 1
	s_sub_co_i32 s12, s10, s3
	s_cmp_ge_u32 s10, s3
	s_cselect_b32 s8, s11, s8
	s_cselect_b32 s10, s12, s10
	s_wait_alu 0xfffe
	s_add_co_i32 s11, s8, 1
	s_cmp_ge_u32 s10, s3
	s_cselect_b32 s3, s11, s8
	s_load_b32 s8, s[0:1], 0x68
	s_xor_b32 s3, s3, s9
	s_wait_alu 0xfffe
	s_sub_co_i32 s21, s3, s9
	s_delay_alu instid0(SALU_CYCLE_1) | instskip(NEXT) | instid1(SALU_CYCLE_1)
	s_abs_i32 s12, s21
	s_cvt_f32_u32 s3, s12
	s_wait_alu 0xfffe
	s_delay_alu instid0(SALU_CYCLE_2) | instskip(SKIP_3) | instid1(TRANS32_DEP_1)
	v_rcp_iflag_f32_e32 v1, s3
	s_mov_b32 s3, 0
	s_wait_kmcnt 0x0
	s_cmp_ge_i32 s27, s8
	v_readfirstlane_b32 s22, v1
	s_cbranch_scc1 .LBB39_28
; %bb.1:
	s_load_b32 s38, s[0:1], 0x38
	s_add_nc_u64 s[28:29], s[0:1], 0x60
	s_load_b32 s23, s[0:1], 0xc4
	s_load_b128 s[8:11], s[28:29], 0x24
	v_lshrrev_b32_e32 v4, 5, v0
	v_mov_b32_e32 v2, 0
	s_mul_i32 s6, s2, s6
	s_mul_i32 s5, s20, s5
	;; [unrolled: 1-line block ×3, first 2 shown]
	s_sub_co_i32 s16, ttmp9, s6
	s_sub_co_i32 s33, s2, s5
	s_sub_co_i32 s36, s20, s4
	s_mov_b32 s39, exec_lo
	s_wait_kmcnt 0x0
	s_mul_i32 s38, s38, s17
	s_and_b32 s37, s23, 0xffff
	v_cmpx_gt_i32_e64 s38, v4
	s_cbranch_execz .LBB39_23
; %bb.2:
	s_mul_f32 s2, s22, 0x4f7ffffe
	s_mov_b32 s40, 0
	s_wait_alu 0xfffe
	s_delay_alu instid0(SALU_CYCLE_1) | instskip(SKIP_2) | instid1(SALU_CYCLE_1)
	s_cvt_u32_f32 s4, s2
	s_sub_co_i32 s2, 0, s12
	s_wait_alu 0xfffe
	s_mul_i32 s5, s2, s4
	s_abs_i32 s2, s27
	s_mul_hi_u32 s6, s4, s5
	s_mov_b32 s5, s3
	s_add_co_i32 s4, s4, s6
	s_ashr_i32 s6, s21, 31
	s_wait_alu 0xfffe
	s_mul_u64 s[4:5], s[2:3], s[4:5]
	s_ashr_i32 s4, s27, 31
	s_mul_i32 s20, s5, s12
	s_lshr_b32 s3, s37, 5
	s_sub_co_i32 s2, s2, s20
	s_xor_b32 s41, s4, s6
	s_add_co_i32 s4, s5, 1
	s_wait_alu 0xfffe
	s_sub_co_i32 s6, s2, s12
	s_cmp_ge_u32 s2, s12
	s_cselect_b32 s4, s4, s5
	s_cselect_b32 s2, s6, s2
	s_add_co_i32 s5, s4, 1
	s_wait_alu 0xfffe
	s_cmp_ge_u32 s2, s12
	s_cselect_b32 s2, s5, s4
	s_abs_i32 s12, s17
	s_abs_i32 s44, s19
	s_cvt_f32_u32 s4, s12
	s_cvt_f32_u32 s5, s44
	s_sub_co_i32 s6, 0, s12
	s_sub_co_i32 s20, 0, s44
	v_rcp_iflag_f32_e32 v1, s4
	v_rcp_iflag_f32_e32 v2, s5
	s_delay_alu instid0(TRANS32_DEP_2) | instskip(NEXT) | instid1(TRANS32_DEP_1)
	v_readfirstlane_b32 s4, v1
	v_readfirstlane_b32 s5, v2
	s_mul_f32 s4, s4, 0x4f7ffffe
	s_mul_f32 s5, s5, 0x4f7ffffe
	s_wait_alu 0xfffe
	s_delay_alu instid0(SALU_CYCLE_1) | instskip(NEXT) | instid1(SALU_CYCLE_1)
	s_cvt_u32_f32 s4, s4
	s_cvt_u32_f32 s5, s5
	s_wait_alu 0xfffe
	s_delay_alu instid0(SALU_CYCLE_1) | instskip(NEXT) | instid1(SALU_CYCLE_1)
	s_mul_i32 s6, s6, s4
	s_mul_i32 s20, s20, s5
	s_mul_hi_u32 s6, s4, s6
	s_delay_alu instid0(SALU_CYCLE_1)
	s_add_co_i32 s4, s4, s6
	s_mul_hi_u32 s6, s5, s20
	s_wait_alu 0xfffe
	v_mul_hi_u32 v2, v4, s4
	v_mov_b32_e32 v5, 0
	s_add_co_i32 s5, s5, s6
	s_clause 0x1
	s_load_b128 s[20:23], s[0:1], 0x9c
	s_load_b64 s[42:43], s[0:1], 0xac
	s_delay_alu instid0(VALU_DEP_2) | instskip(SKIP_1) | instid1(VALU_DEP_2)
	v_mul_lo_u32 v6, v2, s12
	v_add_nc_u32_e32 v8, 1, v2
	v_sub_nc_u32_e32 v9, v4, v6
	s_delay_alu instid0(VALU_DEP_1) | instskip(SKIP_4) | instid1(VALU_DEP_1)
	v_cmp_le_u32_e32 vcc_lo, s12, v9
	s_wait_kmcnt 0x0
	s_mul_i32 s43, s16, s43
	v_cndmask_b32_e32 v2, v2, v8, vcc_lo
	v_subrev_nc_u32_e32 v8, s12, v9
	v_dual_cndmask_b32 v8, v9, v8 :: v_dual_add_nc_u32 v9, 1, v2
	s_delay_alu instid0(VALU_DEP_1) | instskip(SKIP_1) | instid1(VALU_DEP_2)
	v_cmp_le_u32_e32 vcc_lo, s12, v8
	s_wait_alu 0xfffd
	v_dual_cndmask_b32 v2, v2, v9 :: v_dual_and_b32 v1, 31, v0
	s_delay_alu instid0(VALU_DEP_1)
	v_mul_hi_u32 v3, v1, s5
	s_clause 0x3
	s_load_b64 s[30:31], s[0:1], 0x0
	s_load_b96 s[4:6], s[0:1], 0x1c
	s_load_b64 s[34:35], s[0:1], 0x30
	s_load_b96 s[24:26], s[0:1], 0x4c
	s_mul_i32 s1, s36, s23
	s_ashr_i32 s23, s19, 31
	s_sub_co_i32 s12, s1, s20
	s_xor_b32 s1, s2, s41
	v_mul_lo_u32 v7, v3, s44
	s_sub_co_i32 s2, s1, s41
	s_delay_alu instid0(VALU_DEP_1) | instskip(NEXT) | instid1(VALU_DEP_1)
	v_sub_nc_u32_e32 v7, v1, v7
	v_subrev_nc_u32_e32 v10, s44, v7
	v_cmp_le_u32_e64 s0, s44, v7
	s_delay_alu instid0(VALU_DEP_1) | instskip(NEXT) | instid1(VALU_DEP_1)
	v_cndmask_b32_e64 v7, v7, v10, s0
	v_cmp_le_u32_e32 vcc_lo, s44, v7
	v_add_nc_u32_e32 v6, 1, v3
	s_wait_kmcnt 0x0
	s_wait_alu 0xfffe
	s_mul_i32 s44, s25, s2
	s_wait_alu 0xfffe
	s_ashr_i32 s45, s44, 31
	v_cndmask_b32_e64 v3, v3, v6, s0
	s_mul_i32 s0, s5, s27
	s_ashr_i32 s5, s17, 31
	s_wait_alu 0xfffe
	s_ashr_i32 s1, s0, 31
	v_xor_b32_e32 v2, s5, v2
	v_add_nc_u32_e32 v10, 1, v3
	s_wait_alu 0xfffe
	s_lshl_b64 s[0:1], s[0:1], 1
	v_lshlrev_b32_e32 v6, 1, v1
	s_lshl_b64 s[44:45], s[44:45], 1
	v_subrev_nc_u32_e32 v7, s5, v2
	s_wait_alu 0xfffd
	v_dual_cndmask_b32 v3, v3, v10 :: v_dual_mov_b32 v10, 0
	s_wait_alu 0xfffe
	s_add_nc_u64 s[30:31], s[30:31], s[0:1]
	s_mul_i32 s0, s33, s42
	v_mul_lo_u32 v2, v7, s17
	v_xor_b32_e32 v3, s23, v3
	s_add_nc_u64 s[34:35], s[34:35], s[44:45]
	s_sub_co_i32 s5, s43, s22
	s_wait_alu 0xfffe
	s_sub_co_i32 s20, s0, s21
	v_subrev_nc_u32_e32 v8, s23, v3
	s_delay_alu instid0(VALU_DEP_3) | instskip(NEXT) | instid1(VALU_DEP_2)
	v_sub_nc_u32_e32 v9, v4, v2
	v_mul_lo_u32 v3, v8, s19
	v_cmp_gt_i32_e32 vcc_lo, s18, v8
	s_delay_alu instid0(VALU_DEP_2)
	v_sub_nc_u32_e32 v11, v1, v3
	s_branch .LBB39_6
.LBB39_3:                               ;   in Loop: Header=BB39_6 Depth=1
	s_or_b32 exec_lo, exec_lo, s23
.LBB39_4:                               ;   in Loop: Header=BB39_6 Depth=1
	s_wait_alu 0xfffe
	s_or_b32 exec_lo, exec_lo, s22
.LBB39_5:                               ;   in Loop: Header=BB39_6 Depth=1
	s_wait_alu 0xfffe
	s_or_b32 exec_lo, exec_lo, s21
	v_add_nc_u32_e32 v4, s3, v4
	v_add_nc_u32_e32 v9, s3, v9
	s_delay_alu instid0(VALU_DEP_2) | instskip(SKIP_1) | instid1(SALU_CYCLE_1)
	v_cmp_le_i32_e64 s0, s38, v4
	s_or_b32 s40, s0, s40
	s_and_not1_b32 exec_lo, exec_lo, s40
	s_cbranch_execz .LBB39_22
.LBB39_6:                               ; =>This Loop Header: Depth=1
                                        ;     Child Loop BB39_8 Depth 2
                                        ;     Child Loop BB39_14 Depth 2
                                        ;       Child Loop BB39_20 Depth 3
	s_mov_b32 s1, exec_lo
	v_cmpx_le_i32_e64 s17, v9
	s_cbranch_execz .LBB39_10
; %bb.7:                                ;   in Loop: Header=BB39_6 Depth=1
	s_mov_b32 s2, 0
.LBB39_8:                               ;   Parent Loop BB39_6 Depth=1
                                        ; =>  This Inner Loop Header: Depth=2
	v_subrev_nc_u32_e32 v9, s17, v9
	v_add_nc_u32_e32 v7, 1, v7
	s_delay_alu instid0(VALU_DEP_2)
	v_cmp_gt_i32_e64 s0, s17, v9
	s_wait_alu 0xfffe
	s_or_b32 s2, s0, s2
	s_wait_alu 0xfffe
	s_and_not1_b32 exec_lo, exec_lo, s2
	s_cbranch_execnz .LBB39_8
; %bb.9:                                ;   in Loop: Header=BB39_6 Depth=1
	s_or_b32 exec_lo, exec_lo, s2
.LBB39_10:                              ;   in Loop: Header=BB39_6 Depth=1
	s_wait_alu 0xfffe
	s_or_b32 exec_lo, exec_lo, s1
	v_mad_co_u64_u32 v[1:2], null, v9, s11, s[12:13]
	s_delay_alu instid0(VALU_DEP_1)
	v_cmp_lt_i32_e64 s0, -1, v1
	v_cmp_gt_i32_e64 s1, s13, v1
	s_and_b32 s0, s0, s1
	s_wait_alu 0xfffe
	s_and_saveexec_b32 s21, s0
	s_cbranch_execz .LBB39_5
; %bb.11:                               ;   in Loop: Header=BB39_6 Depth=1
	s_and_saveexec_b32 s22, vcc_lo
	s_cbranch_execz .LBB39_4
; %bb.12:                               ;   in Loop: Header=BB39_6 Depth=1
	v_mul_lo_u32 v2, s4, v7
	v_mul_lo_u32 v12, s24, v7
	;; [unrolled: 1-line block ×4, first 2 shown]
	s_mov_b32 s23, 0
	s_delay_alu instid0(VALU_DEP_4) | instskip(NEXT) | instid1(VALU_DEP_4)
	v_ashrrev_i32_e32 v3, 31, v2
	v_ashrrev_i32_e32 v13, 31, v12
	s_delay_alu instid0(VALU_DEP_4) | instskip(NEXT) | instid1(VALU_DEP_4)
	v_ashrrev_i32_e32 v17, 31, v16
	v_ashrrev_i32_e32 v15, 31, v14
	s_delay_alu instid0(VALU_DEP_4) | instskip(NEXT) | instid1(VALU_DEP_4)
	v_lshlrev_b64_e32 v[1:2], 1, v[2:3]
	v_lshlrev_b64_e32 v[12:13], 1, v[12:13]
	s_delay_alu instid0(VALU_DEP_4) | instskip(NEXT) | instid1(VALU_DEP_4)
	v_lshlrev_b64_e32 v[16:17], 1, v[16:17]
	v_lshlrev_b64_e32 v[14:15], 1, v[14:15]
	s_delay_alu instid0(VALU_DEP_4)
	v_add_co_u32 v1, s0, s30, v1
	s_wait_alu 0xf1ff
	v_add_co_ci_u32_e64 v2, null, s31, v2, s0
	v_add_co_u32 v3, s0, s34, v12
	s_wait_alu 0xf1ff
	v_add_co_ci_u32_e64 v13, null, s35, v13, s0
	;; [unrolled: 3-line block ×5, first 2 shown]
	v_dual_mov_b32 v14, v11 :: v_dual_mov_b32 v15, v8
	s_branch .LBB39_14
.LBB39_13:                              ;   in Loop: Header=BB39_14 Depth=2
	s_wait_alu 0xfffe
	s_or_b32 exec_lo, exec_lo, s1
	v_cmp_le_i32_e64 s0, s18, v15
	v_add_co_u32 v1, s1, v1, 64
	s_wait_alu 0xf1ff
	v_add_co_ci_u32_e64 v2, null, 0, v2, s1
	s_wait_loadcnt 0x0
	v_fma_mix_f32 v10, v17, v16, v10 op_sel_hi:[0,1,0]
	s_or_b32 s23, s0, s23
	s_wait_alu 0xfffe
	s_and_not1_b32 exec_lo, exec_lo, s23
	s_cbranch_execz .LBB39_3
.LBB39_14:                              ;   Parent Loop BB39_6 Depth=1
                                        ; =>  This Loop Header: Depth=2
                                        ;       Child Loop BB39_20 Depth 3
	global_load_u16 v16, v[1:2], off
	v_lshl_add_u32 v3, v14, 1, s5
	v_mov_b32_e32 v17, 0
	s_mov_b32 s25, exec_lo
	s_delay_alu instid0(VALU_DEP_2)
	v_cmpx_lt_i32_e32 -1, v3
	s_cbranch_execz .LBB39_18
; %bb.15:                               ;   in Loop: Header=BB39_14 Depth=2
	v_lshl_add_u32 v18, v15, 1, s20
	v_cmp_gt_i32_e64 s0, s15, v3
	v_mov_b32_e32 v17, 0
	s_delay_alu instid0(VALU_DEP_3)
	v_cmp_gt_i32_e64 s1, s14, v18
	v_cmp_lt_i32_e64 s2, -1, v18
	s_and_b32 s0, s0, s1
	s_wait_alu 0xfffe
	s_and_b32 s0, s0, s2
	s_wait_alu 0xfffe
	s_and_saveexec_b32 s1, s0
	s_cbranch_execz .LBB39_17
; %bb.16:                               ;   in Loop: Header=BB39_14 Depth=2
	v_mad_co_u64_u32 v[17:18], null, v18, s15, v[3:4]
	v_mov_b32_e32 v18, v5
	s_delay_alu instid0(VALU_DEP_1) | instskip(NEXT) | instid1(VALU_DEP_1)
	v_lshlrev_b64_e32 v[17:18], 1, v[17:18]
	v_add_co_u32 v17, s0, v12, v17
	s_wait_alu 0xf1ff
	s_delay_alu instid0(VALU_DEP_2)
	v_add_co_ci_u32_e64 v18, null, v13, v18, s0
	global_load_u16 v3, v[17:18], off
	s_wait_loadcnt 0x0
	v_cvt_f32_f16_e32 v17, v3
.LBB39_17:                              ;   in Loop: Header=BB39_14 Depth=2
	s_wait_alu 0xfffe
	s_or_b32 exec_lo, exec_lo, s1
.LBB39_18:                              ;   in Loop: Header=BB39_14 Depth=2
	s_wait_alu 0xfffe
	s_or_b32 exec_lo, exec_lo, s25
	v_add_nc_u32_e32 v14, 32, v14
	s_mov_b32 s1, exec_lo
	s_delay_alu instid0(VALU_DEP_1)
	v_cmpx_le_i32_e64 s19, v14
	s_cbranch_execz .LBB39_13
; %bb.19:                               ;   in Loop: Header=BB39_14 Depth=2
	s_mov_b32 s2, 0
.LBB39_20:                              ;   Parent Loop BB39_6 Depth=1
                                        ;     Parent Loop BB39_14 Depth=2
                                        ; =>    This Inner Loop Header: Depth=3
	v_subrev_nc_u32_e32 v14, s19, v14
	v_add_nc_u32_e32 v15, 1, v15
	s_delay_alu instid0(VALU_DEP_2)
	v_cmp_gt_i32_e64 s0, s19, v14
	s_wait_alu 0xfffe
	s_or_b32 s2, s0, s2
	s_wait_alu 0xfffe
	s_and_not1_b32 exec_lo, exec_lo, s2
	s_cbranch_execnz .LBB39_20
; %bb.21:                               ;   in Loop: Header=BB39_14 Depth=2
	s_or_b32 exec_lo, exec_lo, s2
	s_branch .LBB39_13
.LBB39_22:
	s_or_b32 exec_lo, exec_lo, s40
	v_cvt_f16_f32_e32 v2, v10
.LBB39_23:
	s_or_b32 exec_lo, exec_lo, s39
	s_load_b64 s[0:1], s[28:29], 0x0
	v_lshl_add_u32 v1, v0, 1, 0
	s_bcnt1_i32_b32 s2, s37
	s_wait_alu 0xfffe
	s_cmp_lg_u32 s2, 1
	s_mov_b32 s2, -1
	ds_store_b16 v1, v2
	s_wait_dscnt 0x0
	s_barrier_signal -1
	s_barrier_wait -1
	global_inv scope:SCOPE_SE
	s_cbranch_scc1 .LBB39_32
; %bb.24:
	s_wait_alu 0xfffe
	s_and_not1_b32 vcc_lo, exec_lo, s2
	s_wait_alu 0xfffe
	s_cbranch_vccnz .LBB39_28
.LBB39_25:
	s_cmp_lt_u32 s37, 2
	s_cbranch_scc0 .LBB39_30
.LBB39_26:
	s_mov_b32 s2, exec_lo
	v_cmpx_eq_u32_e32 0, v0
	s_cbranch_execz .LBB39_28
; %bb.27:
	v_mov_b32_e32 v0, 0
	s_mul_i32 s2, s7, s27
	s_mul_i32 s4, s8, s36
	s_wait_alu 0xfffe
	s_ashr_i32 s3, s2, 31
	s_ashr_i32 s5, s4, 31
	ds_load_u16 v1, v0
	s_wait_alu 0xfffe
	s_lshl_b64 s[2:3], s[2:3], 1
	s_wait_kmcnt 0x0
	s_wait_alu 0xfffe
	s_add_nc_u64 s[0:1], s[0:1], s[2:3]
	s_lshl_b64 s[2:3], s[4:5], 1
	s_mul_i32 s4, s9, s33
	s_wait_alu 0xfffe
	s_add_nc_u64 s[0:1], s[0:1], s[2:3]
	s_ashr_i32 s5, s4, 31
	s_mul_i32 s2, s10, s16
	s_wait_alu 0xfffe
	s_lshl_b64 s[4:5], s[4:5], 1
	s_ashr_i32 s3, s2, 31
	s_wait_alu 0xfffe
	s_add_nc_u64 s[0:1], s[0:1], s[4:5]
	s_lshl_b64 s[2:3], s[2:3], 1
	s_wait_alu 0xfffe
	s_add_nc_u64 s[0:1], s[0:1], s[2:3]
	s_wait_dscnt 0x0
	global_store_b16 v0, v1, s[0:1]
.LBB39_28:
	s_endpgm
.LBB39_29:                              ;   in Loop: Header=BB39_30 Depth=1
	s_or_b32 exec_lo, exec_lo, s3
	s_cmp_lt_u32 s37, 4
	s_mov_b32 s37, s2
	s_wait_loadcnt_dscnt 0x0
	s_barrier_signal -1
	s_barrier_wait -1
	global_inv scope:SCOPE_SE
	s_cbranch_scc1 .LBB39_26
.LBB39_30:                              ; =>This Inner Loop Header: Depth=1
	s_lshr_b32 s2, s37, 1
	s_mov_b32 s3, exec_lo
	s_wait_alu 0xfffe
	v_cmpx_gt_u32_e64 s2, v0
	s_cbranch_execz .LBB39_29
; %bb.31:                               ;   in Loop: Header=BB39_30 Depth=1
	v_lshl_add_u32 v2, s2, 1, v1
	ds_load_u16 v2, v2
	ds_load_u16 v3, v1
	s_wait_dscnt 0x0
	v_add_f16_e32 v2, v2, v3
	ds_store_b16 v1, v2
	s_branch .LBB39_29
.LBB39_32:
	s_trap 2
	; divergent unreachable
	s_cbranch_execz .LBB39_25
	s_branch .LBB39_28
	.section	.rodata,"a",@progbits
	.p2align	6, 0x0
	.amdhsa_kernel _ZN2at6native12_GLOBAL__N_144conv_depthwise3d_cuda_backward_weight_kernelIN3c104HalfEfLi2ELi2EEEvN5torch10headeronly6detail27GenericPackedTensorAccessorINS7_14TensorAccessorINS3_8ArrayRefIlEEKT_Lm4ENS6_16DefaultPtrTraitsEiEENS_6detail16IndexBoundsCheckILm5EiEESD_Lm5ESE_iEESJ_NS8_INS9_ISB_SC_Lm4ESE_iEESI_SC_Lm5ESE_iEEiiiiiiiii
		.amdhsa_group_segment_fixed_size 0
		.amdhsa_private_segment_fixed_size 0
		.amdhsa_kernarg_size 440
		.amdhsa_user_sgpr_count 2
		.amdhsa_user_sgpr_dispatch_ptr 0
		.amdhsa_user_sgpr_queue_ptr 0
		.amdhsa_user_sgpr_kernarg_segment_ptr 1
		.amdhsa_user_sgpr_dispatch_id 0
		.amdhsa_user_sgpr_private_segment_size 0
		.amdhsa_wavefront_size32 1
		.amdhsa_uses_dynamic_stack 0
		.amdhsa_enable_private_segment 0
		.amdhsa_system_sgpr_workgroup_id_x 1
		.amdhsa_system_sgpr_workgroup_id_y 0
		.amdhsa_system_sgpr_workgroup_id_z 0
		.amdhsa_system_sgpr_workgroup_info 0
		.amdhsa_system_vgpr_workitem_id 0
		.amdhsa_next_free_vgpr 19
		.amdhsa_next_free_sgpr 46
		.amdhsa_reserve_vcc 1
		.amdhsa_float_round_mode_32 0
		.amdhsa_float_round_mode_16_64 0
		.amdhsa_float_denorm_mode_32 3
		.amdhsa_float_denorm_mode_16_64 3
		.amdhsa_fp16_overflow 0
		.amdhsa_workgroup_processor_mode 1
		.amdhsa_memory_ordered 1
		.amdhsa_forward_progress 1
		.amdhsa_inst_pref_size 19
		.amdhsa_round_robin_scheduling 0
		.amdhsa_exception_fp_ieee_invalid_op 0
		.amdhsa_exception_fp_denorm_src 0
		.amdhsa_exception_fp_ieee_div_zero 0
		.amdhsa_exception_fp_ieee_overflow 0
		.amdhsa_exception_fp_ieee_underflow 0
		.amdhsa_exception_fp_ieee_inexact 0
		.amdhsa_exception_int_div_zero 0
	.end_amdhsa_kernel
	.section	.text._ZN2at6native12_GLOBAL__N_144conv_depthwise3d_cuda_backward_weight_kernelIN3c104HalfEfLi2ELi2EEEvN5torch10headeronly6detail27GenericPackedTensorAccessorINS7_14TensorAccessorINS3_8ArrayRefIlEEKT_Lm4ENS6_16DefaultPtrTraitsEiEENS_6detail16IndexBoundsCheckILm5EiEESD_Lm5ESE_iEESJ_NS8_INS9_ISB_SC_Lm4ESE_iEESI_SC_Lm5ESE_iEEiiiiiiiii,"axG",@progbits,_ZN2at6native12_GLOBAL__N_144conv_depthwise3d_cuda_backward_weight_kernelIN3c104HalfEfLi2ELi2EEEvN5torch10headeronly6detail27GenericPackedTensorAccessorINS7_14TensorAccessorINS3_8ArrayRefIlEEKT_Lm4ENS6_16DefaultPtrTraitsEiEENS_6detail16IndexBoundsCheckILm5EiEESD_Lm5ESE_iEESJ_NS8_INS9_ISB_SC_Lm4ESE_iEESI_SC_Lm5ESE_iEEiiiiiiiii,comdat
.Lfunc_end39:
	.size	_ZN2at6native12_GLOBAL__N_144conv_depthwise3d_cuda_backward_weight_kernelIN3c104HalfEfLi2ELi2EEEvN5torch10headeronly6detail27GenericPackedTensorAccessorINS7_14TensorAccessorINS3_8ArrayRefIlEEKT_Lm4ENS6_16DefaultPtrTraitsEiEENS_6detail16IndexBoundsCheckILm5EiEESD_Lm5ESE_iEESJ_NS8_INS9_ISB_SC_Lm4ESE_iEESI_SC_Lm5ESE_iEEiiiiiiiii, .Lfunc_end39-_ZN2at6native12_GLOBAL__N_144conv_depthwise3d_cuda_backward_weight_kernelIN3c104HalfEfLi2ELi2EEEvN5torch10headeronly6detail27GenericPackedTensorAccessorINS7_14TensorAccessorINS3_8ArrayRefIlEEKT_Lm4ENS6_16DefaultPtrTraitsEiEENS_6detail16IndexBoundsCheckILm5EiEESD_Lm5ESE_iEESJ_NS8_INS9_ISB_SC_Lm4ESE_iEESI_SC_Lm5ESE_iEEiiiiiiiii
                                        ; -- End function
	.set _ZN2at6native12_GLOBAL__N_144conv_depthwise3d_cuda_backward_weight_kernelIN3c104HalfEfLi2ELi2EEEvN5torch10headeronly6detail27GenericPackedTensorAccessorINS7_14TensorAccessorINS3_8ArrayRefIlEEKT_Lm4ENS6_16DefaultPtrTraitsEiEENS_6detail16IndexBoundsCheckILm5EiEESD_Lm5ESE_iEESJ_NS8_INS9_ISB_SC_Lm4ESE_iEESI_SC_Lm5ESE_iEEiiiiiiiii.num_vgpr, 19
	.set _ZN2at6native12_GLOBAL__N_144conv_depthwise3d_cuda_backward_weight_kernelIN3c104HalfEfLi2ELi2EEEvN5torch10headeronly6detail27GenericPackedTensorAccessorINS7_14TensorAccessorINS3_8ArrayRefIlEEKT_Lm4ENS6_16DefaultPtrTraitsEiEENS_6detail16IndexBoundsCheckILm5EiEESD_Lm5ESE_iEESJ_NS8_INS9_ISB_SC_Lm4ESE_iEESI_SC_Lm5ESE_iEEiiiiiiiii.num_agpr, 0
	.set _ZN2at6native12_GLOBAL__N_144conv_depthwise3d_cuda_backward_weight_kernelIN3c104HalfEfLi2ELi2EEEvN5torch10headeronly6detail27GenericPackedTensorAccessorINS7_14TensorAccessorINS3_8ArrayRefIlEEKT_Lm4ENS6_16DefaultPtrTraitsEiEENS_6detail16IndexBoundsCheckILm5EiEESD_Lm5ESE_iEESJ_NS8_INS9_ISB_SC_Lm4ESE_iEESI_SC_Lm5ESE_iEEiiiiiiiii.numbered_sgpr, 46
	.set _ZN2at6native12_GLOBAL__N_144conv_depthwise3d_cuda_backward_weight_kernelIN3c104HalfEfLi2ELi2EEEvN5torch10headeronly6detail27GenericPackedTensorAccessorINS7_14TensorAccessorINS3_8ArrayRefIlEEKT_Lm4ENS6_16DefaultPtrTraitsEiEENS_6detail16IndexBoundsCheckILm5EiEESD_Lm5ESE_iEESJ_NS8_INS9_ISB_SC_Lm4ESE_iEESI_SC_Lm5ESE_iEEiiiiiiiii.num_named_barrier, 0
	.set _ZN2at6native12_GLOBAL__N_144conv_depthwise3d_cuda_backward_weight_kernelIN3c104HalfEfLi2ELi2EEEvN5torch10headeronly6detail27GenericPackedTensorAccessorINS7_14TensorAccessorINS3_8ArrayRefIlEEKT_Lm4ENS6_16DefaultPtrTraitsEiEENS_6detail16IndexBoundsCheckILm5EiEESD_Lm5ESE_iEESJ_NS8_INS9_ISB_SC_Lm4ESE_iEESI_SC_Lm5ESE_iEEiiiiiiiii.private_seg_size, 0
	.set _ZN2at6native12_GLOBAL__N_144conv_depthwise3d_cuda_backward_weight_kernelIN3c104HalfEfLi2ELi2EEEvN5torch10headeronly6detail27GenericPackedTensorAccessorINS7_14TensorAccessorINS3_8ArrayRefIlEEKT_Lm4ENS6_16DefaultPtrTraitsEiEENS_6detail16IndexBoundsCheckILm5EiEESD_Lm5ESE_iEESJ_NS8_INS9_ISB_SC_Lm4ESE_iEESI_SC_Lm5ESE_iEEiiiiiiiii.uses_vcc, 1
	.set _ZN2at6native12_GLOBAL__N_144conv_depthwise3d_cuda_backward_weight_kernelIN3c104HalfEfLi2ELi2EEEvN5torch10headeronly6detail27GenericPackedTensorAccessorINS7_14TensorAccessorINS3_8ArrayRefIlEEKT_Lm4ENS6_16DefaultPtrTraitsEiEENS_6detail16IndexBoundsCheckILm5EiEESD_Lm5ESE_iEESJ_NS8_INS9_ISB_SC_Lm4ESE_iEESI_SC_Lm5ESE_iEEiiiiiiiii.uses_flat_scratch, 0
	.set _ZN2at6native12_GLOBAL__N_144conv_depthwise3d_cuda_backward_weight_kernelIN3c104HalfEfLi2ELi2EEEvN5torch10headeronly6detail27GenericPackedTensorAccessorINS7_14TensorAccessorINS3_8ArrayRefIlEEKT_Lm4ENS6_16DefaultPtrTraitsEiEENS_6detail16IndexBoundsCheckILm5EiEESD_Lm5ESE_iEESJ_NS8_INS9_ISB_SC_Lm4ESE_iEESI_SC_Lm5ESE_iEEiiiiiiiii.has_dyn_sized_stack, 0
	.set _ZN2at6native12_GLOBAL__N_144conv_depthwise3d_cuda_backward_weight_kernelIN3c104HalfEfLi2ELi2EEEvN5torch10headeronly6detail27GenericPackedTensorAccessorINS7_14TensorAccessorINS3_8ArrayRefIlEEKT_Lm4ENS6_16DefaultPtrTraitsEiEENS_6detail16IndexBoundsCheckILm5EiEESD_Lm5ESE_iEESJ_NS8_INS9_ISB_SC_Lm4ESE_iEESI_SC_Lm5ESE_iEEiiiiiiiii.has_recursion, 0
	.set _ZN2at6native12_GLOBAL__N_144conv_depthwise3d_cuda_backward_weight_kernelIN3c104HalfEfLi2ELi2EEEvN5torch10headeronly6detail27GenericPackedTensorAccessorINS7_14TensorAccessorINS3_8ArrayRefIlEEKT_Lm4ENS6_16DefaultPtrTraitsEiEENS_6detail16IndexBoundsCheckILm5EiEESD_Lm5ESE_iEESJ_NS8_INS9_ISB_SC_Lm4ESE_iEESI_SC_Lm5ESE_iEEiiiiiiiii.has_indirect_call, 0
	.section	.AMDGPU.csdata,"",@progbits
; Kernel info:
; codeLenInByte = 2352
; TotalNumSgprs: 48
; NumVgprs: 19
; ScratchSize: 0
; MemoryBound: 0
; FloatMode: 240
; IeeeMode: 1
; LDSByteSize: 0 bytes/workgroup (compile time only)
; SGPRBlocks: 0
; VGPRBlocks: 2
; NumSGPRsForWavesPerEU: 48
; NumVGPRsForWavesPerEU: 19
; Occupancy: 16
; WaveLimiterHint : 1
; COMPUTE_PGM_RSRC2:SCRATCH_EN: 0
; COMPUTE_PGM_RSRC2:USER_SGPR: 2
; COMPUTE_PGM_RSRC2:TRAP_HANDLER: 0
; COMPUTE_PGM_RSRC2:TGID_X_EN: 1
; COMPUTE_PGM_RSRC2:TGID_Y_EN: 0
; COMPUTE_PGM_RSRC2:TGID_Z_EN: 0
; COMPUTE_PGM_RSRC2:TIDIG_COMP_CNT: 0
	.section	.text._ZN2at6native12_GLOBAL__N_144conv_depthwise3d_cuda_backward_weight_kernelIN3c104HalfEfLin1ELin1EEEvN5torch10headeronly6detail27GenericPackedTensorAccessorINS7_14TensorAccessorINS3_8ArrayRefIlEEKT_Lm4ENS6_16DefaultPtrTraitsEiEENS_6detail16IndexBoundsCheckILm5EiEESD_Lm5ESE_iEESJ_NS8_INS9_ISB_SC_Lm4ESE_iEESI_SC_Lm5ESE_iEEiiiiiiiii,"axG",@progbits,_ZN2at6native12_GLOBAL__N_144conv_depthwise3d_cuda_backward_weight_kernelIN3c104HalfEfLin1ELin1EEEvN5torch10headeronly6detail27GenericPackedTensorAccessorINS7_14TensorAccessorINS3_8ArrayRefIlEEKT_Lm4ENS6_16DefaultPtrTraitsEiEENS_6detail16IndexBoundsCheckILm5EiEESD_Lm5ESE_iEESJ_NS8_INS9_ISB_SC_Lm4ESE_iEESI_SC_Lm5ESE_iEEiiiiiiiii,comdat
	.globl	_ZN2at6native12_GLOBAL__N_144conv_depthwise3d_cuda_backward_weight_kernelIN3c104HalfEfLin1ELin1EEEvN5torch10headeronly6detail27GenericPackedTensorAccessorINS7_14TensorAccessorINS3_8ArrayRefIlEEKT_Lm4ENS6_16DefaultPtrTraitsEiEENS_6detail16IndexBoundsCheckILm5EiEESD_Lm5ESE_iEESJ_NS8_INS9_ISB_SC_Lm4ESE_iEESI_SC_Lm5ESE_iEEiiiiiiiii ; -- Begin function _ZN2at6native12_GLOBAL__N_144conv_depthwise3d_cuda_backward_weight_kernelIN3c104HalfEfLin1ELin1EEEvN5torch10headeronly6detail27GenericPackedTensorAccessorINS7_14TensorAccessorINS3_8ArrayRefIlEEKT_Lm4ENS6_16DefaultPtrTraitsEiEENS_6detail16IndexBoundsCheckILm5EiEESD_Lm5ESE_iEESJ_NS8_INS9_ISB_SC_Lm4ESE_iEESI_SC_Lm5ESE_iEEiiiiiiiii
	.p2align	8
	.type	_ZN2at6native12_GLOBAL__N_144conv_depthwise3d_cuda_backward_weight_kernelIN3c104HalfEfLin1ELin1EEEvN5torch10headeronly6detail27GenericPackedTensorAccessorINS7_14TensorAccessorINS3_8ArrayRefIlEEKT_Lm4ENS6_16DefaultPtrTraitsEiEENS_6detail16IndexBoundsCheckILm5EiEESD_Lm5ESE_iEESJ_NS8_INS9_ISB_SC_Lm4ESE_iEESI_SC_Lm5ESE_iEEiiiiiiiii,@function
_ZN2at6native12_GLOBAL__N_144conv_depthwise3d_cuda_backward_weight_kernelIN3c104HalfEfLin1ELin1EEEvN5torch10headeronly6detail27GenericPackedTensorAccessorINS7_14TensorAccessorINS3_8ArrayRefIlEEKT_Lm4ENS6_16DefaultPtrTraitsEiEENS_6detail16IndexBoundsCheckILm5EiEESD_Lm5ESE_iEESJ_NS8_INS9_ISB_SC_Lm4ESE_iEESI_SC_Lm5ESE_iEEiiiiiiiii: ; @_ZN2at6native12_GLOBAL__N_144conv_depthwise3d_cuda_backward_weight_kernelIN3c104HalfEfLin1ELin1EEEvN5torch10headeronly6detail27GenericPackedTensorAccessorINS7_14TensorAccessorINS3_8ArrayRefIlEEKT_Lm4ENS6_16DefaultPtrTraitsEiEENS_6detail16IndexBoundsCheckILm5EiEESD_Lm5ESE_iEESJ_NS8_INS9_ISB_SC_Lm4ESE_iEESI_SC_Lm5ESE_iEEiiiiiiiii
; %bb.0:
	s_clause 0x2
	s_load_b128 s[12:15], s[0:1], 0x70
	s_load_b128 s[16:19], s[0:1], 0x3c
	;; [unrolled: 1-line block ×3, first 2 shown]
	s_wait_kmcnt 0x0
	s_cvt_f32_u32 s2, s14
	s_cvt_f32_u32 s3, s13
	s_sub_co_i32 s4, 0, s14
	s_delay_alu instid0(SALU_CYCLE_1) | instskip(NEXT) | instid1(TRANS32_DEP_1)
	v_rcp_iflag_f32_e32 v1, s2
	v_readfirstlane_b32 s2, v1
	v_rcp_iflag_f32_e32 v1, s3
	s_mul_f32 s2, s2, 0x4f7ffffe
	s_wait_alu 0xfffe
	s_delay_alu instid0(SALU_CYCLE_2) | instskip(NEXT) | instid1(TRANS32_DEP_1)
	s_cvt_u32_f32 s2, s2
	v_readfirstlane_b32 s5, v1
	s_wait_alu 0xfffe
	s_delay_alu instid0(SALU_CYCLE_1) | instskip(NEXT) | instid1(SALU_CYCLE_1)
	s_mul_i32 s4, s4, s2
	s_mul_hi_u32 s3, s2, s4
	s_mul_f32 s5, s5, 0x4f7ffffe
	s_wait_alu 0xfffe
	s_add_co_i32 s2, s2, s3
	s_cvt_f32_u32 s3, s12
	s_wait_alu 0xfffe
	s_mul_hi_u32 s2, ttmp9, s2
	s_wait_alu 0xfffe
	s_mul_i32 s4, s2, s14
	s_add_co_i32 s6, s2, 1
	s_sub_co_i32 s4, ttmp9, s4
	v_rcp_iflag_f32_e32 v1, s3
	s_sub_co_i32 s7, s4, s14
	s_cmp_ge_u32 s4, s14
	s_cselect_b32 s2, s6, s2
	s_cselect_b32 s4, s7, s4
	s_wait_alu 0xfffe
	s_add_co_i32 s6, s2, 1
	s_cmp_ge_u32 s4, s14
	s_cvt_u32_f32 s4, s5
	s_cselect_b32 s2, s6, s2
	s_sub_co_i32 s5, 0, s13
	s_delay_alu instid0(SALU_CYCLE_1) | instskip(NEXT) | instid1(SALU_CYCLE_1)
	s_mul_i32 s5, s5, s4
	s_mul_hi_u32 s3, s4, s5
	v_readfirstlane_b32 s5, v1
	s_wait_alu 0xfffe
	s_add_co_i32 s4, s4, s3
	s_delay_alu instid0(SALU_CYCLE_1)
	s_mul_hi_u32 s3, s2, s4
	s_wait_alu 0xfffe
	s_mul_i32 s4, s3, s13
	s_add_co_i32 s6, s3, 1
	s_sub_co_i32 s4, s2, s4
	s_mul_f32 s5, s5, 0x4f7ffffe
	s_sub_co_i32 s7, s4, s13
	s_cmp_ge_u32 s4, s13
	s_cselect_b32 s3, s6, s3
	s_cselect_b32 s4, s7, s4
	s_wait_alu 0xfffe
	s_add_co_i32 s6, s3, 1
	s_cmp_ge_u32 s4, s13
	s_cvt_u32_f32 s4, s5
	s_cselect_b32 s28, s6, s3
	s_sub_co_i32 s3, 0, s12
	s_wait_alu 0xfffe
	s_mul_i32 s3, s3, s4
	s_wait_alu 0xfffe
	s_mul_hi_u32 s3, s4, s3
	s_wait_alu 0xfffe
	s_add_co_i32 s4, s4, s3
	s_delay_alu instid0(SALU_CYCLE_1) | instskip(SKIP_4) | instid1(SALU_CYCLE_1)
	s_mul_hi_u32 s3, s28, s4
	s_wait_alu 0xfffe
	s_mul_i32 s4, s3, s12
	s_add_co_i32 s5, s3, 1
	s_sub_co_i32 s4, s28, s4
	s_sub_co_i32 s6, s4, s12
	s_cmp_ge_u32 s4, s12
	s_cselect_b32 s3, s5, s3
	s_cselect_b32 s4, s6, s4
	s_wait_alu 0xfffe
	s_add_co_i32 s5, s3, 1
	s_cmp_ge_u32 s4, s12
	s_cselect_b32 s31, s5, s3
	s_abs_i32 s3, s16
	s_abs_i32 s6, s20
	s_wait_alu 0xfffe
	s_cvt_f32_u32 s4, s3
	s_sub_co_i32 s5, 0, s3
	s_delay_alu instid0(SALU_CYCLE_2) | instskip(NEXT) | instid1(TRANS32_DEP_1)
	v_rcp_iflag_f32_e32 v1, s4
	v_readfirstlane_b32 s4, v1
	s_mul_f32 s4, s4, 0x4f7ffffe
	s_wait_alu 0xfffe
	s_delay_alu instid0(SALU_CYCLE_2) | instskip(SKIP_1) | instid1(SALU_CYCLE_2)
	s_cvt_u32_f32 s4, s4
	s_wait_alu 0xfffe
	s_mul_i32 s5, s5, s4
	s_wait_alu 0xfffe
	s_mul_hi_u32 s5, s4, s5
	s_wait_alu 0xfffe
	s_add_co_i32 s4, s4, s5
	s_xor_b32 s5, s20, s16
	s_wait_alu 0xfffe
	s_mul_hi_u32 s4, s6, s4
	s_ashr_i32 s5, s5, 31
	s_wait_alu 0xfffe
	s_mul_i32 s7, s4, s3
	s_delay_alu instid0(SALU_CYCLE_1)
	s_sub_co_i32 s6, s6, s7
	s_add_co_i32 s7, s4, 1
	s_sub_co_i32 s8, s6, s3
	s_cmp_ge_u32 s6, s3
	s_cselect_b32 s4, s7, s4
	s_cselect_b32 s6, s8, s6
	s_wait_alu 0xfffe
	s_add_co_i32 s7, s4, 1
	s_cmp_ge_u32 s6, s3
	s_cselect_b32 s3, s7, s4
	s_load_b32 s4, s[0:1], 0x68
	s_xor_b32 s3, s3, s5
	s_wait_alu 0xfffe
	s_sub_co_i32 s20, s3, s5
	s_delay_alu instid0(SALU_CYCLE_1) | instskip(NEXT) | instid1(SALU_CYCLE_1)
	s_abs_i32 s16, s20
	s_cvt_f32_u32 s3, s16
	s_wait_alu 0xfffe
	s_delay_alu instid0(SALU_CYCLE_2) | instskip(SKIP_3) | instid1(TRANS32_DEP_1)
	v_rcp_iflag_f32_e32 v1, s3
	s_mov_b32 s3, 0
	s_wait_kmcnt 0x0
	s_cmp_ge_i32 s31, s4
	v_readfirstlane_b32 s29, v1
	s_cbranch_scc1 .LBB40_28
; %bb.1:
	s_load_b32 s43, s[0:1], 0x38
	s_add_nc_u64 s[34:35], s[0:1], 0x60
	s_load_b32 s30, s[0:1], 0xc4
	s_clause 0x1
	s_load_b128 s[24:27], s[34:35], 0x44
	s_load_b256 s[4:11], s[34:35], 0x24
	v_lshrrev_b32_e32 v6, 5, v0
	v_mov_b32_e32 v2, 0
	s_mul_i32 s14, s2, s14
	s_mul_i32 s13, s28, s13
	;; [unrolled: 1-line block ×3, first 2 shown]
	s_sub_co_i32 s33, ttmp9, s14
	s_sub_co_i32 s40, s2, s13
	s_sub_co_i32 s41, s28, s12
	s_mov_b32 s44, exec_lo
	s_wait_kmcnt 0x0
	s_and_b32 s42, s30, 0xffff
	s_mul_i32 s43, s43, s21
	s_delay_alu instid0(SALU_CYCLE_1)
	v_cmpx_gt_i32_e64 s43, v6
	s_cbranch_execz .LBB40_23
; %bb.2:
	s_mul_f32 s2, s29, 0x4f7ffffe
	s_mul_i32 s25, s41, s25
	s_mov_b32 s45, 0
	v_mov_b32_e32 v7, 0
	s_wait_alu 0xfffe
	s_cvt_u32_f32 s12, s2
	s_sub_co_i32 s2, 0, s16
	v_mov_b32_e32 v13, 0
	s_wait_alu 0xfffe
	s_mul_i32 s13, s2, s12
	s_abs_i32 s2, s31
	s_mul_hi_u32 s14, s12, s13
	s_mov_b32 s13, s3
	s_add_co_i32 s12, s12, s14
	s_ashr_i32 s14, s20, 31
	s_wait_alu 0xfffe
	s_mul_u64 s[12:13], s[2:3], s[12:13]
	s_ashr_i32 s12, s31, 31
	s_mul_i32 s20, s13, s16
	s_lshr_b32 s3, s42, 5
	s_sub_co_i32 s2, s2, s20
	s_xor_b32 s46, s12, s14
	s_add_co_i32 s12, s13, 1
	s_wait_alu 0xfffe
	s_sub_co_i32 s14, s2, s16
	s_cmp_ge_u32 s2, s16
	s_cselect_b32 s12, s12, s13
	s_cselect_b32 s2, s14, s2
	s_add_co_i32 s13, s12, 1
	s_wait_alu 0xfffe
	s_cmp_ge_u32 s2, s16
	s_cselect_b32 s16, s13, s12
	s_abs_i32 s20, s21
	s_abs_i32 s47, s23
	s_cvt_f32_u32 s2, s20
	s_cvt_f32_u32 s12, s47
	s_sub_co_i32 s13, 0, s20
	s_sub_co_i32 s14, 0, s47
	s_wait_alu 0xfffe
	v_rcp_iflag_f32_e32 v1, s2
	v_rcp_iflag_f32_e32 v2, s12
	s_sub_co_i32 s10, s25, s10
	s_delay_alu instid0(TRANS32_DEP_2) | instskip(NEXT) | instid1(TRANS32_DEP_1)
	v_readfirstlane_b32 s2, v1
	v_readfirstlane_b32 s12, v2
	v_and_b32_e32 v1, 31, v0
	s_mul_f32 s2, s2, 0x4f7ffffe
	s_mul_f32 s12, s12, 0x4f7ffffe
	s_wait_alu 0xfffe
	s_delay_alu instid0(SALU_CYCLE_1) | instskip(NEXT) | instid1(SALU_CYCLE_1)
	s_cvt_u32_f32 s2, s2
	s_cvt_u32_f32 s12, s12
	s_wait_alu 0xfffe
	s_delay_alu instid0(SALU_CYCLE_1) | instskip(NEXT) | instid1(SALU_CYCLE_1)
	s_mul_i32 s13, s13, s2
	s_mul_i32 s14, s14, s12
	s_wait_alu 0xfffe
	s_mul_hi_u32 s13, s2, s13
	s_wait_alu 0xfffe
	s_add_co_i32 s2, s2, s13
	s_mul_hi_u32 s13, s12, s14
	s_wait_alu 0xfffe
	v_mul_hi_u32 v2, v6, s2
	s_add_co_i32 s12, s12, s13
	s_wait_alu 0xfffe
	v_mul_hi_u32 v3, v1, s12
	s_clause 0x3
	s_load_b64 s[36:37], s[0:1], 0x0
	s_load_b96 s[12:14], s[0:1], 0x1c
	s_load_b64 s[38:39], s[0:1], 0x30
	s_load_b96 s[28:30], s[0:1], 0x4c
	s_ashr_i32 s1, s21, 31
	v_mul_lo_u32 v4, v2, s20
	v_add_nc_u32_e32 v8, 1, v2
	v_mul_lo_u32 v5, v3, s47
	s_delay_alu instid0(VALU_DEP_3) | instskip(NEXT) | instid1(VALU_DEP_2)
	v_sub_nc_u32_e32 v4, v6, v4
	v_sub_nc_u32_e32 v5, v1, v5
	s_delay_alu instid0(VALU_DEP_2) | instskip(SKIP_1) | instid1(VALU_DEP_3)
	v_cmp_le_u32_e32 vcc_lo, s20, v4
	v_add_nc_u32_e32 v9, 1, v3
	v_cmp_le_u32_e64 s2, s47, v5
	s_wait_kmcnt 0x0
	s_mul_i32 s0, s13, s31
	v_cndmask_b32_e32 v2, v2, v8, vcc_lo
	v_subrev_nc_u32_e32 v8, s20, v4
	s_xor_b32 s13, s16, s46
	v_cndmask_b32_e64 v3, v3, v9, s2
	v_subrev_nc_u32_e32 v9, s47, v5
	s_wait_alu 0xfffe
	s_sub_co_i32 s13, s13, s46
	v_cndmask_b32_e32 v4, v4, v8, vcc_lo
	s_wait_alu 0xfffe
	s_mul_i32 s46, s29, s13
	v_cndmask_b32_e64 v5, v5, v9, s2
	v_add_nc_u32_e32 v9, 1, v3
	v_add_nc_u32_e32 v8, 1, v2
	v_cmp_le_u32_e32 vcc_lo, s20, v4
	s_ashr_i32 s20, s23, 31
	s_mul_i32 s2, s33, s27
	s_wait_alu 0xfffe
	s_sub_co_i32 s16, s2, s24
	s_wait_alu 0xfffd
	v_cndmask_b32_e32 v2, v2, v8, vcc_lo
	v_cmp_le_u32_e32 vcc_lo, s47, v5
	s_ashr_i32 s47, s46, 31
	v_lshlrev_b32_e32 v8, 1, v1
	s_wait_alu 0xfffe
	s_lshl_b64 s[46:47], s[46:47], 1
	v_xor_b32_e32 v2, s1, v2
	s_wait_alu 0xfffd
	v_cndmask_b32_e32 v3, v3, v9, vcc_lo
	s_wait_alu 0xfffe
	s_add_nc_u64 s[38:39], s[38:39], s[46:47]
	v_subrev_nc_u32_e32 v9, s1, v2
	s_delay_alu instid0(VALU_DEP_2)
	v_xor_b32_e32 v3, s20, v3
	s_ashr_i32 s1, s0, 31
	s_wait_alu 0xfffe
	s_lshl_b64 s[0:1], s[0:1], 1
	v_mul_lo_u32 v2, v9, s21
	v_subrev_nc_u32_e32 v10, s20, v3
	s_wait_alu 0xfffe
	s_add_nc_u64 s[36:37], s[36:37], s[0:1]
	s_mul_i32 s0, s40, s26
	s_wait_alu 0xfffe
	s_sub_co_i32 s20, s0, s11
	v_mul_lo_u32 v3, v10, s23
	v_cmp_gt_i32_e32 vcc_lo, s22, v10
	v_sub_nc_u32_e32 v11, v6, v2
	s_delay_alu instid0(VALU_DEP_3)
	v_sub_nc_u32_e32 v12, v1, v3
	s_branch .LBB40_6
.LBB40_3:                               ;   in Loop: Header=BB40_6 Depth=1
	s_or_b32 exec_lo, exec_lo, s24
.LBB40_4:                               ;   in Loop: Header=BB40_6 Depth=1
	s_wait_alu 0xfffe
	s_or_b32 exec_lo, exec_lo, s13
.LBB40_5:                               ;   in Loop: Header=BB40_6 Depth=1
	s_wait_alu 0xfffe
	s_or_b32 exec_lo, exec_lo, s11
	v_add_nc_u32_e32 v6, s3, v6
	v_add_nc_u32_e32 v11, s3, v11
	s_delay_alu instid0(VALU_DEP_2) | instskip(SKIP_1) | instid1(SALU_CYCLE_1)
	v_cmp_le_i32_e64 s0, s43, v6
	s_or_b32 s45, s0, s45
	s_and_not1_b32 exec_lo, exec_lo, s45
	s_cbranch_execz .LBB40_22
.LBB40_6:                               ; =>This Loop Header: Depth=1
                                        ;     Child Loop BB40_8 Depth 2
                                        ;     Child Loop BB40_14 Depth 2
                                        ;       Child Loop BB40_20 Depth 3
	s_mov_b32 s1, exec_lo
	s_delay_alu instid0(VALU_DEP_2)
	v_cmpx_le_i32_e64 s21, v11
	s_cbranch_execz .LBB40_10
; %bb.7:                                ;   in Loop: Header=BB40_6 Depth=1
	s_mov_b32 s2, 0
.LBB40_8:                               ;   Parent Loop BB40_6 Depth=1
                                        ; =>  This Inner Loop Header: Depth=2
	v_subrev_nc_u32_e32 v11, s21, v11
	v_add_nc_u32_e32 v9, 1, v9
	s_delay_alu instid0(VALU_DEP_2)
	v_cmp_gt_i32_e64 s0, s21, v11
	s_wait_alu 0xfffe
	s_or_b32 s2, s0, s2
	s_wait_alu 0xfffe
	s_and_not1_b32 exec_lo, exec_lo, s2
	s_cbranch_execnz .LBB40_8
; %bb.9:                                ;   in Loop: Header=BB40_6 Depth=1
	s_or_b32 exec_lo, exec_lo, s2
.LBB40_10:                              ;   in Loop: Header=BB40_6 Depth=1
	s_wait_alu 0xfffe
	s_or_b32 exec_lo, exec_lo, s1
	v_mad_co_u64_u32 v[1:2], null, v11, s7, s[10:11]
	s_delay_alu instid0(VALU_DEP_1)
	v_cmp_lt_i32_e64 s0, -1, v1
	v_cmp_gt_i32_e64 s1, s17, v1
	s_and_b32 s0, s0, s1
	s_wait_alu 0xfffe
	s_and_saveexec_b32 s11, s0
	s_cbranch_execz .LBB40_5
; %bb.11:                               ;   in Loop: Header=BB40_6 Depth=1
	s_and_saveexec_b32 s13, vcc_lo
	s_cbranch_execz .LBB40_4
; %bb.12:                               ;   in Loop: Header=BB40_6 Depth=1
	v_mul_lo_u32 v2, s12, v9
	v_mul_lo_u32 v4, s28, v9
	;; [unrolled: 1-line block ×4, first 2 shown]
	s_mov_b32 s24, 0
	s_delay_alu instid0(VALU_DEP_4) | instskip(NEXT) | instid1(VALU_DEP_4)
	v_ashrrev_i32_e32 v3, 31, v2
	v_ashrrev_i32_e32 v5, 31, v4
	s_delay_alu instid0(VALU_DEP_4) | instskip(NEXT) | instid1(VALU_DEP_4)
	v_ashrrev_i32_e32 v17, 31, v16
	v_ashrrev_i32_e32 v15, 31, v14
	s_delay_alu instid0(VALU_DEP_4) | instskip(NEXT) | instid1(VALU_DEP_4)
	v_lshlrev_b64_e32 v[1:2], 1, v[2:3]
	v_lshlrev_b64_e32 v[3:4], 1, v[4:5]
	s_delay_alu instid0(VALU_DEP_4) | instskip(NEXT) | instid1(VALU_DEP_4)
	v_lshlrev_b64_e32 v[16:17], 1, v[16:17]
	v_lshlrev_b64_e32 v[14:15], 1, v[14:15]
	s_delay_alu instid0(VALU_DEP_4)
	v_add_co_u32 v1, s0, s36, v1
	s_wait_alu 0xf1ff
	v_add_co_ci_u32_e64 v2, null, s37, v2, s0
	v_add_co_u32 v3, s0, s38, v3
	s_wait_alu 0xf1ff
	v_add_co_ci_u32_e64 v4, null, s39, v4, s0
	;; [unrolled: 3-line block ×5, first 2 shown]
	v_dual_mov_b32 v16, v12 :: v_dual_mov_b32 v17, v10
	s_branch .LBB40_14
.LBB40_13:                              ;   in Loop: Header=BB40_14 Depth=2
	s_wait_alu 0xfffe
	s_or_b32 exec_lo, exec_lo, s1
	v_cmp_le_i32_e64 s0, s22, v17
	v_add_co_u32 v1, s1, v1, 64
	s_wait_alu 0xf1ff
	v_add_co_ci_u32_e64 v2, null, 0, v2, s1
	s_wait_loadcnt 0x0
	v_fma_mix_f32 v13, v5, v18, v13 op_sel_hi:[0,1,0]
	s_or_b32 s24, s0, s24
	s_delay_alu instid0(SALU_CYCLE_1)
	s_and_not1_b32 exec_lo, exec_lo, s24
	s_cbranch_execz .LBB40_3
.LBB40_14:                              ;   Parent Loop BB40_6 Depth=1
                                        ; =>  This Loop Header: Depth=2
                                        ;       Child Loop BB40_20 Depth 3
	global_load_u16 v18, v[1:2], off
	v_mad_co_u64_u32 v[3:4], null, v16, s9, s[16:17]
	v_mov_b32_e32 v5, 0
	s_mov_b32 s25, exec_lo
	s_delay_alu instid0(VALU_DEP_2)
	v_cmpx_lt_i32_e32 -1, v3
	s_cbranch_execz .LBB40_18
; %bb.15:                               ;   in Loop: Header=BB40_14 Depth=2
	v_mad_co_u64_u32 v[4:5], null, v17, s8, s[20:21]
	v_cmp_gt_i32_e64 s0, s19, v3
	v_mov_b32_e32 v5, 0
	s_delay_alu instid0(VALU_DEP_3)
	v_cmp_gt_i32_e64 s1, s18, v4
	v_cmp_lt_i32_e64 s2, -1, v4
	s_and_b32 s0, s0, s1
	s_wait_alu 0xfffe
	s_and_b32 s0, s0, s2
	s_wait_alu 0xfffe
	s_and_saveexec_b32 s1, s0
	s_cbranch_execz .LBB40_17
; %bb.16:                               ;   in Loop: Header=BB40_14 Depth=2
	v_mad_co_u64_u32 v[3:4], null, v4, s19, v[3:4]
	v_mov_b32_e32 v4, v7
	s_delay_alu instid0(VALU_DEP_1) | instskip(NEXT) | instid1(VALU_DEP_1)
	v_lshlrev_b64_e32 v[3:4], 1, v[3:4]
	v_add_co_u32 v3, s0, v14, v3
	s_wait_alu 0xf1ff
	s_delay_alu instid0(VALU_DEP_2)
	v_add_co_ci_u32_e64 v4, null, v15, v4, s0
	global_load_u16 v3, v[3:4], off
	s_wait_loadcnt 0x0
	v_cvt_f32_f16_e32 v5, v3
.LBB40_17:                              ;   in Loop: Header=BB40_14 Depth=2
	s_wait_alu 0xfffe
	s_or_b32 exec_lo, exec_lo, s1
.LBB40_18:                              ;   in Loop: Header=BB40_14 Depth=2
	s_delay_alu instid0(SALU_CYCLE_1) | instskip(SKIP_2) | instid1(VALU_DEP_1)
	s_or_b32 exec_lo, exec_lo, s25
	v_add_nc_u32_e32 v16, 32, v16
	s_mov_b32 s1, exec_lo
	v_cmpx_le_i32_e64 s23, v16
	s_cbranch_execz .LBB40_13
; %bb.19:                               ;   in Loop: Header=BB40_14 Depth=2
	s_mov_b32 s2, 0
.LBB40_20:                              ;   Parent Loop BB40_6 Depth=1
                                        ;     Parent Loop BB40_14 Depth=2
                                        ; =>    This Inner Loop Header: Depth=3
	v_subrev_nc_u32_e32 v16, s23, v16
	v_add_nc_u32_e32 v17, 1, v17
	s_delay_alu instid0(VALU_DEP_2)
	v_cmp_gt_i32_e64 s0, s23, v16
	s_wait_alu 0xfffe
	s_or_b32 s2, s0, s2
	s_wait_alu 0xfffe
	s_and_not1_b32 exec_lo, exec_lo, s2
	s_cbranch_execnz .LBB40_20
; %bb.21:                               ;   in Loop: Header=BB40_14 Depth=2
	s_or_b32 exec_lo, exec_lo, s2
	s_branch .LBB40_13
.LBB40_22:
	s_or_b32 exec_lo, exec_lo, s45
	v_cvt_f16_f32_e32 v2, v13
.LBB40_23:
	s_or_b32 exec_lo, exec_lo, s44
	s_load_b64 s[0:1], s[34:35], 0x0
	v_lshl_add_u32 v1, v0, 1, 0
	s_bcnt1_i32_b32 s2, s42
	s_wait_alu 0xfffe
	s_cmp_lg_u32 s2, 1
	s_mov_b32 s2, -1
	ds_store_b16 v1, v2
	s_wait_dscnt 0x0
	s_barrier_signal -1
	s_barrier_wait -1
	global_inv scope:SCOPE_SE
	s_cbranch_scc1 .LBB40_32
; %bb.24:
	s_wait_alu 0xfffe
	s_and_not1_b32 vcc_lo, exec_lo, s2
	s_wait_alu 0xfffe
	s_cbranch_vccnz .LBB40_28
.LBB40_25:
	s_cmp_lt_u32 s42, 2
	s_cbranch_scc0 .LBB40_30
.LBB40_26:
	s_mov_b32 s2, exec_lo
	v_cmpx_eq_u32_e32 0, v0
	s_cbranch_execz .LBB40_28
; %bb.27:
	v_mov_b32_e32 v0, 0
	s_mul_i32 s2, s15, s31
	s_mul_i32 s8, s4, s41
	s_wait_alu 0xfffe
	s_ashr_i32 s3, s2, 31
	s_ashr_i32 s9, s8, 31
	ds_load_u16 v1, v0
	s_wait_alu 0xfffe
	s_lshl_b64 s[2:3], s[2:3], 1
	s_mul_i32 s4, s5, s40
	s_wait_kmcnt 0x0
	s_wait_alu 0xfffe
	s_add_nc_u64 s[0:1], s[0:1], s[2:3]
	s_lshl_b64 s[2:3], s[8:9], 1
	s_ashr_i32 s5, s4, 31
	s_wait_alu 0xfffe
	s_add_nc_u64 s[0:1], s[0:1], s[2:3]
	s_mul_i32 s2, s6, s33
	s_lshl_b64 s[4:5], s[4:5], 1
	s_wait_alu 0xfffe
	s_ashr_i32 s3, s2, 31
	s_add_nc_u64 s[0:1], s[0:1], s[4:5]
	s_wait_alu 0xfffe
	s_lshl_b64 s[2:3], s[2:3], 1
	s_wait_alu 0xfffe
	s_add_nc_u64 s[0:1], s[0:1], s[2:3]
	s_wait_dscnt 0x0
	global_store_b16 v0, v1, s[0:1]
.LBB40_28:
	s_endpgm
.LBB40_29:                              ;   in Loop: Header=BB40_30 Depth=1
	s_or_b32 exec_lo, exec_lo, s3
	s_cmp_lt_u32 s42, 4
	s_mov_b32 s42, s2
	s_wait_loadcnt_dscnt 0x0
	s_barrier_signal -1
	s_barrier_wait -1
	global_inv scope:SCOPE_SE
	s_cbranch_scc1 .LBB40_26
.LBB40_30:                              ; =>This Inner Loop Header: Depth=1
	s_wait_alu 0xfffe
	s_lshr_b32 s2, s42, 1
	s_mov_b32 s3, exec_lo
	s_wait_alu 0xfffe
	v_cmpx_gt_u32_e64 s2, v0
	s_cbranch_execz .LBB40_29
; %bb.31:                               ;   in Loop: Header=BB40_30 Depth=1
	v_lshl_add_u32 v2, s2, 1, v1
	ds_load_u16 v2, v2
	ds_load_u16 v3, v1
	s_wait_dscnt 0x0
	v_add_f16_e32 v2, v2, v3
	ds_store_b16 v1, v2
	s_branch .LBB40_29
.LBB40_32:
	s_trap 2
	; divergent unreachable
	s_cbranch_execz .LBB40_25
	s_branch .LBB40_28
	.section	.rodata,"a",@progbits
	.p2align	6, 0x0
	.amdhsa_kernel _ZN2at6native12_GLOBAL__N_144conv_depthwise3d_cuda_backward_weight_kernelIN3c104HalfEfLin1ELin1EEEvN5torch10headeronly6detail27GenericPackedTensorAccessorINS7_14TensorAccessorINS3_8ArrayRefIlEEKT_Lm4ENS6_16DefaultPtrTraitsEiEENS_6detail16IndexBoundsCheckILm5EiEESD_Lm5ESE_iEESJ_NS8_INS9_ISB_SC_Lm4ESE_iEESI_SC_Lm5ESE_iEEiiiiiiiii
		.amdhsa_group_segment_fixed_size 0
		.amdhsa_private_segment_fixed_size 0
		.amdhsa_kernarg_size 440
		.amdhsa_user_sgpr_count 2
		.amdhsa_user_sgpr_dispatch_ptr 0
		.amdhsa_user_sgpr_queue_ptr 0
		.amdhsa_user_sgpr_kernarg_segment_ptr 1
		.amdhsa_user_sgpr_dispatch_id 0
		.amdhsa_user_sgpr_private_segment_size 0
		.amdhsa_wavefront_size32 1
		.amdhsa_uses_dynamic_stack 0
		.amdhsa_enable_private_segment 0
		.amdhsa_system_sgpr_workgroup_id_x 1
		.amdhsa_system_sgpr_workgroup_id_y 0
		.amdhsa_system_sgpr_workgroup_id_z 0
		.amdhsa_system_sgpr_workgroup_info 0
		.amdhsa_system_vgpr_workitem_id 0
		.amdhsa_next_free_vgpr 19
		.amdhsa_next_free_sgpr 48
		.amdhsa_reserve_vcc 1
		.amdhsa_float_round_mode_32 0
		.amdhsa_float_round_mode_16_64 0
		.amdhsa_float_denorm_mode_32 3
		.amdhsa_float_denorm_mode_16_64 3
		.amdhsa_fp16_overflow 0
		.amdhsa_workgroup_processor_mode 1
		.amdhsa_memory_ordered 1
		.amdhsa_forward_progress 1
		.amdhsa_inst_pref_size 19
		.amdhsa_round_robin_scheduling 0
		.amdhsa_exception_fp_ieee_invalid_op 0
		.amdhsa_exception_fp_denorm_src 0
		.amdhsa_exception_fp_ieee_div_zero 0
		.amdhsa_exception_fp_ieee_overflow 0
		.amdhsa_exception_fp_ieee_underflow 0
		.amdhsa_exception_fp_ieee_inexact 0
		.amdhsa_exception_int_div_zero 0
	.end_amdhsa_kernel
	.section	.text._ZN2at6native12_GLOBAL__N_144conv_depthwise3d_cuda_backward_weight_kernelIN3c104HalfEfLin1ELin1EEEvN5torch10headeronly6detail27GenericPackedTensorAccessorINS7_14TensorAccessorINS3_8ArrayRefIlEEKT_Lm4ENS6_16DefaultPtrTraitsEiEENS_6detail16IndexBoundsCheckILm5EiEESD_Lm5ESE_iEESJ_NS8_INS9_ISB_SC_Lm4ESE_iEESI_SC_Lm5ESE_iEEiiiiiiiii,"axG",@progbits,_ZN2at6native12_GLOBAL__N_144conv_depthwise3d_cuda_backward_weight_kernelIN3c104HalfEfLin1ELin1EEEvN5torch10headeronly6detail27GenericPackedTensorAccessorINS7_14TensorAccessorINS3_8ArrayRefIlEEKT_Lm4ENS6_16DefaultPtrTraitsEiEENS_6detail16IndexBoundsCheckILm5EiEESD_Lm5ESE_iEESJ_NS8_INS9_ISB_SC_Lm4ESE_iEESI_SC_Lm5ESE_iEEiiiiiiiii,comdat
.Lfunc_end40:
	.size	_ZN2at6native12_GLOBAL__N_144conv_depthwise3d_cuda_backward_weight_kernelIN3c104HalfEfLin1ELin1EEEvN5torch10headeronly6detail27GenericPackedTensorAccessorINS7_14TensorAccessorINS3_8ArrayRefIlEEKT_Lm4ENS6_16DefaultPtrTraitsEiEENS_6detail16IndexBoundsCheckILm5EiEESD_Lm5ESE_iEESJ_NS8_INS9_ISB_SC_Lm4ESE_iEESI_SC_Lm5ESE_iEEiiiiiiiii, .Lfunc_end40-_ZN2at6native12_GLOBAL__N_144conv_depthwise3d_cuda_backward_weight_kernelIN3c104HalfEfLin1ELin1EEEvN5torch10headeronly6detail27GenericPackedTensorAccessorINS7_14TensorAccessorINS3_8ArrayRefIlEEKT_Lm4ENS6_16DefaultPtrTraitsEiEENS_6detail16IndexBoundsCheckILm5EiEESD_Lm5ESE_iEESJ_NS8_INS9_ISB_SC_Lm4ESE_iEESI_SC_Lm5ESE_iEEiiiiiiiii
                                        ; -- End function
	.set _ZN2at6native12_GLOBAL__N_144conv_depthwise3d_cuda_backward_weight_kernelIN3c104HalfEfLin1ELin1EEEvN5torch10headeronly6detail27GenericPackedTensorAccessorINS7_14TensorAccessorINS3_8ArrayRefIlEEKT_Lm4ENS6_16DefaultPtrTraitsEiEENS_6detail16IndexBoundsCheckILm5EiEESD_Lm5ESE_iEESJ_NS8_INS9_ISB_SC_Lm4ESE_iEESI_SC_Lm5ESE_iEEiiiiiiiii.num_vgpr, 19
	.set _ZN2at6native12_GLOBAL__N_144conv_depthwise3d_cuda_backward_weight_kernelIN3c104HalfEfLin1ELin1EEEvN5torch10headeronly6detail27GenericPackedTensorAccessorINS7_14TensorAccessorINS3_8ArrayRefIlEEKT_Lm4ENS6_16DefaultPtrTraitsEiEENS_6detail16IndexBoundsCheckILm5EiEESD_Lm5ESE_iEESJ_NS8_INS9_ISB_SC_Lm4ESE_iEESI_SC_Lm5ESE_iEEiiiiiiiii.num_agpr, 0
	.set _ZN2at6native12_GLOBAL__N_144conv_depthwise3d_cuda_backward_weight_kernelIN3c104HalfEfLin1ELin1EEEvN5torch10headeronly6detail27GenericPackedTensorAccessorINS7_14TensorAccessorINS3_8ArrayRefIlEEKT_Lm4ENS6_16DefaultPtrTraitsEiEENS_6detail16IndexBoundsCheckILm5EiEESD_Lm5ESE_iEESJ_NS8_INS9_ISB_SC_Lm4ESE_iEESI_SC_Lm5ESE_iEEiiiiiiiii.numbered_sgpr, 48
	.set _ZN2at6native12_GLOBAL__N_144conv_depthwise3d_cuda_backward_weight_kernelIN3c104HalfEfLin1ELin1EEEvN5torch10headeronly6detail27GenericPackedTensorAccessorINS7_14TensorAccessorINS3_8ArrayRefIlEEKT_Lm4ENS6_16DefaultPtrTraitsEiEENS_6detail16IndexBoundsCheckILm5EiEESD_Lm5ESE_iEESJ_NS8_INS9_ISB_SC_Lm4ESE_iEESI_SC_Lm5ESE_iEEiiiiiiiii.num_named_barrier, 0
	.set _ZN2at6native12_GLOBAL__N_144conv_depthwise3d_cuda_backward_weight_kernelIN3c104HalfEfLin1ELin1EEEvN5torch10headeronly6detail27GenericPackedTensorAccessorINS7_14TensorAccessorINS3_8ArrayRefIlEEKT_Lm4ENS6_16DefaultPtrTraitsEiEENS_6detail16IndexBoundsCheckILm5EiEESD_Lm5ESE_iEESJ_NS8_INS9_ISB_SC_Lm4ESE_iEESI_SC_Lm5ESE_iEEiiiiiiiii.private_seg_size, 0
	.set _ZN2at6native12_GLOBAL__N_144conv_depthwise3d_cuda_backward_weight_kernelIN3c104HalfEfLin1ELin1EEEvN5torch10headeronly6detail27GenericPackedTensorAccessorINS7_14TensorAccessorINS3_8ArrayRefIlEEKT_Lm4ENS6_16DefaultPtrTraitsEiEENS_6detail16IndexBoundsCheckILm5EiEESD_Lm5ESE_iEESJ_NS8_INS9_ISB_SC_Lm4ESE_iEESI_SC_Lm5ESE_iEEiiiiiiiii.uses_vcc, 1
	.set _ZN2at6native12_GLOBAL__N_144conv_depthwise3d_cuda_backward_weight_kernelIN3c104HalfEfLin1ELin1EEEvN5torch10headeronly6detail27GenericPackedTensorAccessorINS7_14TensorAccessorINS3_8ArrayRefIlEEKT_Lm4ENS6_16DefaultPtrTraitsEiEENS_6detail16IndexBoundsCheckILm5EiEESD_Lm5ESE_iEESJ_NS8_INS9_ISB_SC_Lm4ESE_iEESI_SC_Lm5ESE_iEEiiiiiiiii.uses_flat_scratch, 0
	.set _ZN2at6native12_GLOBAL__N_144conv_depthwise3d_cuda_backward_weight_kernelIN3c104HalfEfLin1ELin1EEEvN5torch10headeronly6detail27GenericPackedTensorAccessorINS7_14TensorAccessorINS3_8ArrayRefIlEEKT_Lm4ENS6_16DefaultPtrTraitsEiEENS_6detail16IndexBoundsCheckILm5EiEESD_Lm5ESE_iEESJ_NS8_INS9_ISB_SC_Lm4ESE_iEESI_SC_Lm5ESE_iEEiiiiiiiii.has_dyn_sized_stack, 0
	.set _ZN2at6native12_GLOBAL__N_144conv_depthwise3d_cuda_backward_weight_kernelIN3c104HalfEfLin1ELin1EEEvN5torch10headeronly6detail27GenericPackedTensorAccessorINS7_14TensorAccessorINS3_8ArrayRefIlEEKT_Lm4ENS6_16DefaultPtrTraitsEiEENS_6detail16IndexBoundsCheckILm5EiEESD_Lm5ESE_iEESJ_NS8_INS9_ISB_SC_Lm4ESE_iEESI_SC_Lm5ESE_iEEiiiiiiiii.has_recursion, 0
	.set _ZN2at6native12_GLOBAL__N_144conv_depthwise3d_cuda_backward_weight_kernelIN3c104HalfEfLin1ELin1EEEvN5torch10headeronly6detail27GenericPackedTensorAccessorINS7_14TensorAccessorINS3_8ArrayRefIlEEKT_Lm4ENS6_16DefaultPtrTraitsEiEENS_6detail16IndexBoundsCheckILm5EiEESD_Lm5ESE_iEESJ_NS8_INS9_ISB_SC_Lm4ESE_iEESI_SC_Lm5ESE_iEEiiiiiiiii.has_indirect_call, 0
	.section	.AMDGPU.csdata,"",@progbits
; Kernel info:
; codeLenInByte = 2348
; TotalNumSgprs: 50
; NumVgprs: 19
; ScratchSize: 0
; MemoryBound: 0
; FloatMode: 240
; IeeeMode: 1
; LDSByteSize: 0 bytes/workgroup (compile time only)
; SGPRBlocks: 0
; VGPRBlocks: 2
; NumSGPRsForWavesPerEU: 50
; NumVGPRsForWavesPerEU: 19
; Occupancy: 16
; WaveLimiterHint : 1
; COMPUTE_PGM_RSRC2:SCRATCH_EN: 0
; COMPUTE_PGM_RSRC2:USER_SGPR: 2
; COMPUTE_PGM_RSRC2:TRAP_HANDLER: 0
; COMPUTE_PGM_RSRC2:TGID_X_EN: 1
; COMPUTE_PGM_RSRC2:TGID_Y_EN: 0
; COMPUTE_PGM_RSRC2:TGID_Z_EN: 0
; COMPUTE_PGM_RSRC2:TIDIG_COMP_CNT: 0
	.section	.text._ZN2at6native12_GLOBAL__N_144conv_depthwise3d_cuda_backward_weight_kernelIN3c108BFloat16EfLi1ELi1EEEvN5torch10headeronly6detail27GenericPackedTensorAccessorINS7_14TensorAccessorINS3_8ArrayRefIlEEKT_Lm4ENS6_16DefaultPtrTraitsEiEENS_6detail16IndexBoundsCheckILm5EiEESD_Lm5ESE_iEESJ_NS8_INS9_ISB_SC_Lm4ESE_iEESI_SC_Lm5ESE_iEEiiiiiiiii,"axG",@progbits,_ZN2at6native12_GLOBAL__N_144conv_depthwise3d_cuda_backward_weight_kernelIN3c108BFloat16EfLi1ELi1EEEvN5torch10headeronly6detail27GenericPackedTensorAccessorINS7_14TensorAccessorINS3_8ArrayRefIlEEKT_Lm4ENS6_16DefaultPtrTraitsEiEENS_6detail16IndexBoundsCheckILm5EiEESD_Lm5ESE_iEESJ_NS8_INS9_ISB_SC_Lm4ESE_iEESI_SC_Lm5ESE_iEEiiiiiiiii,comdat
	.globl	_ZN2at6native12_GLOBAL__N_144conv_depthwise3d_cuda_backward_weight_kernelIN3c108BFloat16EfLi1ELi1EEEvN5torch10headeronly6detail27GenericPackedTensorAccessorINS7_14TensorAccessorINS3_8ArrayRefIlEEKT_Lm4ENS6_16DefaultPtrTraitsEiEENS_6detail16IndexBoundsCheckILm5EiEESD_Lm5ESE_iEESJ_NS8_INS9_ISB_SC_Lm4ESE_iEESI_SC_Lm5ESE_iEEiiiiiiiii ; -- Begin function _ZN2at6native12_GLOBAL__N_144conv_depthwise3d_cuda_backward_weight_kernelIN3c108BFloat16EfLi1ELi1EEEvN5torch10headeronly6detail27GenericPackedTensorAccessorINS7_14TensorAccessorINS3_8ArrayRefIlEEKT_Lm4ENS6_16DefaultPtrTraitsEiEENS_6detail16IndexBoundsCheckILm5EiEESD_Lm5ESE_iEESJ_NS8_INS9_ISB_SC_Lm4ESE_iEESI_SC_Lm5ESE_iEEiiiiiiiii
	.p2align	8
	.type	_ZN2at6native12_GLOBAL__N_144conv_depthwise3d_cuda_backward_weight_kernelIN3c108BFloat16EfLi1ELi1EEEvN5torch10headeronly6detail27GenericPackedTensorAccessorINS7_14TensorAccessorINS3_8ArrayRefIlEEKT_Lm4ENS6_16DefaultPtrTraitsEiEENS_6detail16IndexBoundsCheckILm5EiEESD_Lm5ESE_iEESJ_NS8_INS9_ISB_SC_Lm4ESE_iEESI_SC_Lm5ESE_iEEiiiiiiiii,@function
_ZN2at6native12_GLOBAL__N_144conv_depthwise3d_cuda_backward_weight_kernelIN3c108BFloat16EfLi1ELi1EEEvN5torch10headeronly6detail27GenericPackedTensorAccessorINS7_14TensorAccessorINS3_8ArrayRefIlEEKT_Lm4ENS6_16DefaultPtrTraitsEiEENS_6detail16IndexBoundsCheckILm5EiEESD_Lm5ESE_iEESJ_NS8_INS9_ISB_SC_Lm4ESE_iEESI_SC_Lm5ESE_iEEiiiiiiiii: ; @_ZN2at6native12_GLOBAL__N_144conv_depthwise3d_cuda_backward_weight_kernelIN3c108BFloat16EfLi1ELi1EEEvN5torch10headeronly6detail27GenericPackedTensorAccessorINS7_14TensorAccessorINS3_8ArrayRefIlEEKT_Lm4ENS6_16DefaultPtrTraitsEiEENS_6detail16IndexBoundsCheckILm5EiEESD_Lm5ESE_iEESJ_NS8_INS9_ISB_SC_Lm4ESE_iEESI_SC_Lm5ESE_iEEiiiiiiiii
; %bb.0:
	s_clause 0x2
	s_load_b128 s[4:7], s[0:1], 0x70
	s_load_b128 s[12:15], s[0:1], 0x3c
	;; [unrolled: 1-line block ×3, first 2 shown]
	s_wait_kmcnt 0x0
	s_cvt_f32_u32 s2, s6
	s_cvt_f32_u32 s3, s5
	s_sub_co_i32 s8, 0, s6
	s_delay_alu instid0(SALU_CYCLE_1) | instskip(NEXT) | instid1(TRANS32_DEP_1)
	v_rcp_iflag_f32_e32 v1, s2
	v_readfirstlane_b32 s2, v1
	v_rcp_iflag_f32_e32 v1, s3
	s_mul_f32 s2, s2, 0x4f7ffffe
	s_wait_alu 0xfffe
	s_delay_alu instid0(SALU_CYCLE_2) | instskip(NEXT) | instid1(TRANS32_DEP_1)
	s_cvt_u32_f32 s2, s2
	v_readfirstlane_b32 s9, v1
	s_wait_alu 0xfffe
	s_delay_alu instid0(SALU_CYCLE_1) | instskip(NEXT) | instid1(SALU_CYCLE_1)
	s_mul_i32 s8, s8, s2
	s_mul_hi_u32 s3, s2, s8
	s_mul_f32 s9, s9, 0x4f7ffffe
	s_wait_alu 0xfffe
	s_add_co_i32 s2, s2, s3
	s_cvt_f32_u32 s3, s4
	s_wait_alu 0xfffe
	s_mul_hi_u32 s2, ttmp9, s2
	s_wait_alu 0xfffe
	s_mul_i32 s8, s2, s6
	s_add_co_i32 s10, s2, 1
	s_sub_co_i32 s8, ttmp9, s8
	v_rcp_iflag_f32_e32 v1, s3
	s_sub_co_i32 s11, s8, s6
	s_cmp_ge_u32 s8, s6
	s_cselect_b32 s2, s10, s2
	s_cselect_b32 s8, s11, s8
	s_wait_alu 0xfffe
	s_add_co_i32 s10, s2, 1
	s_cmp_ge_u32 s8, s6
	s_cvt_u32_f32 s8, s9
	s_cselect_b32 s2, s10, s2
	s_sub_co_i32 s9, 0, s5
	s_delay_alu instid0(SALU_CYCLE_1) | instskip(NEXT) | instid1(SALU_CYCLE_1)
	s_mul_i32 s9, s9, s8
	s_mul_hi_u32 s3, s8, s9
	v_readfirstlane_b32 s9, v1
	s_wait_alu 0xfffe
	s_add_co_i32 s8, s8, s3
	s_delay_alu instid0(SALU_CYCLE_1)
	s_mul_hi_u32 s3, s2, s8
	s_wait_alu 0xfffe
	s_mul_i32 s8, s3, s5
	s_add_co_i32 s10, s3, 1
	s_sub_co_i32 s8, s2, s8
	s_mul_f32 s9, s9, 0x4f7ffffe
	s_sub_co_i32 s11, s8, s5
	s_cmp_ge_u32 s8, s5
	s_cselect_b32 s3, s10, s3
	s_cselect_b32 s8, s11, s8
	s_wait_alu 0xfffe
	s_add_co_i32 s10, s3, 1
	s_cmp_ge_u32 s8, s5
	s_cvt_u32_f32 s8, s9
	s_cselect_b32 s20, s10, s3
	s_sub_co_i32 s3, 0, s4
	s_wait_alu 0xfffe
	s_mul_i32 s3, s3, s8
	s_wait_alu 0xfffe
	s_mul_hi_u32 s3, s8, s3
	s_wait_alu 0xfffe
	s_add_co_i32 s8, s8, s3
	s_delay_alu instid0(SALU_CYCLE_1) | instskip(SKIP_4) | instid1(SALU_CYCLE_1)
	s_mul_hi_u32 s3, s20, s8
	s_wait_alu 0xfffe
	s_mul_i32 s8, s3, s4
	s_add_co_i32 s9, s3, 1
	s_sub_co_i32 s8, s20, s8
	s_sub_co_i32 s10, s8, s4
	s_cmp_ge_u32 s8, s4
	s_cselect_b32 s3, s9, s3
	s_cselect_b32 s8, s10, s8
	s_wait_alu 0xfffe
	s_add_co_i32 s9, s3, 1
	s_cmp_ge_u32 s8, s4
	s_cselect_b32 s27, s9, s3
	s_abs_i32 s3, s12
	s_abs_i32 s10, s16
	s_wait_alu 0xfffe
	s_cvt_f32_u32 s8, s3
	s_sub_co_i32 s9, 0, s3
	s_delay_alu instid0(SALU_CYCLE_2) | instskip(NEXT) | instid1(TRANS32_DEP_1)
	v_rcp_iflag_f32_e32 v1, s8
	v_readfirstlane_b32 s8, v1
	s_mul_f32 s8, s8, 0x4f7ffffe
	s_wait_alu 0xfffe
	s_delay_alu instid0(SALU_CYCLE_2) | instskip(SKIP_1) | instid1(SALU_CYCLE_2)
	s_cvt_u32_f32 s8, s8
	s_wait_alu 0xfffe
	s_mul_i32 s9, s9, s8
	s_wait_alu 0xfffe
	s_mul_hi_u32 s9, s8, s9
	s_wait_alu 0xfffe
	s_add_co_i32 s8, s8, s9
	s_xor_b32 s9, s16, s12
	s_wait_alu 0xfffe
	s_mul_hi_u32 s8, s10, s8
	s_ashr_i32 s9, s9, 31
	s_wait_alu 0xfffe
	s_mul_i32 s11, s8, s3
	s_delay_alu instid0(SALU_CYCLE_1)
	s_sub_co_i32 s10, s10, s11
	s_add_co_i32 s11, s8, 1
	s_sub_co_i32 s12, s10, s3
	s_cmp_ge_u32 s10, s3
	s_cselect_b32 s8, s11, s8
	s_cselect_b32 s10, s12, s10
	s_wait_alu 0xfffe
	s_add_co_i32 s11, s8, 1
	s_cmp_ge_u32 s10, s3
	s_cselect_b32 s3, s11, s8
	s_load_b32 s8, s[0:1], 0x68
	s_xor_b32 s3, s3, s9
	s_wait_alu 0xfffe
	s_sub_co_i32 s21, s3, s9
	s_delay_alu instid0(SALU_CYCLE_1) | instskip(NEXT) | instid1(SALU_CYCLE_1)
	s_abs_i32 s12, s21
	s_cvt_f32_u32 s3, s12
	s_wait_alu 0xfffe
	s_delay_alu instid0(SALU_CYCLE_2) | instskip(SKIP_3) | instid1(TRANS32_DEP_1)
	v_rcp_iflag_f32_e32 v1, s3
	s_mov_b32 s3, 0
	s_wait_kmcnt 0x0
	s_cmp_ge_i32 s27, s8
	v_readfirstlane_b32 s22, v1
	s_cbranch_scc1 .LBB41_28
; %bb.1:
	s_load_b32 s38, s[0:1], 0x38
	s_add_nc_u64 s[28:29], s[0:1], 0x60
	s_load_b32 s23, s[0:1], 0xc4
	s_load_b128 s[8:11], s[28:29], 0x24
	v_lshrrev_b32_e32 v4, 5, v0
	v_mov_b32_e32 v7, 0
	s_mul_i32 s6, s2, s6
	s_mul_i32 s5, s20, s5
	;; [unrolled: 1-line block ×3, first 2 shown]
	s_sub_co_i32 s16, ttmp9, s6
	s_sub_co_i32 s33, s2, s5
	s_sub_co_i32 s36, s20, s4
	s_mov_b32 s39, exec_lo
	s_wait_kmcnt 0x0
	s_mul_i32 s38, s38, s17
	s_and_b32 s37, s23, 0xffff
	v_cmpx_gt_i32_e64 s38, v4
	s_cbranch_execz .LBB41_23
; %bb.2:
	s_mul_f32 s2, s22, 0x4f7ffffe
	s_mov_b32 s40, 0
	s_wait_alu 0xfffe
	s_delay_alu instid0(SALU_CYCLE_1) | instskip(SKIP_2) | instid1(SALU_CYCLE_1)
	s_cvt_u32_f32 s4, s2
	s_sub_co_i32 s2, 0, s12
	s_wait_alu 0xfffe
	s_mul_i32 s5, s2, s4
	s_abs_i32 s2, s27
	s_mul_hi_u32 s6, s4, s5
	s_mov_b32 s5, s3
	s_add_co_i32 s4, s4, s6
	s_ashr_i32 s6, s21, 31
	s_wait_alu 0xfffe
	s_mul_u64 s[4:5], s[2:3], s[4:5]
	s_ashr_i32 s4, s27, 31
	s_mul_i32 s20, s5, s12
	s_lshr_b32 s3, s37, 5
	s_sub_co_i32 s2, s2, s20
	s_xor_b32 s41, s4, s6
	s_add_co_i32 s4, s5, 1
	s_wait_alu 0xfffe
	s_sub_co_i32 s6, s2, s12
	s_cmp_ge_u32 s2, s12
	s_cselect_b32 s4, s4, s5
	s_cselect_b32 s2, s6, s2
	s_add_co_i32 s5, s4, 1
	s_wait_alu 0xfffe
	s_cmp_ge_u32 s2, s12
	s_cselect_b32 s2, s5, s4
	s_abs_i32 s12, s17
	s_abs_i32 s44, s19
	s_cvt_f32_u32 s4, s12
	s_cvt_f32_u32 s5, s44
	s_sub_co_i32 s6, 0, s12
	s_sub_co_i32 s20, 0, s44
	v_rcp_iflag_f32_e32 v1, s4
	v_rcp_iflag_f32_e32 v2, s5
	s_delay_alu instid0(TRANS32_DEP_2) | instskip(NEXT) | instid1(TRANS32_DEP_1)
	v_readfirstlane_b32 s4, v1
	v_readfirstlane_b32 s5, v2
	s_mul_f32 s4, s4, 0x4f7ffffe
	s_mul_f32 s5, s5, 0x4f7ffffe
	s_wait_alu 0xfffe
	s_delay_alu instid0(SALU_CYCLE_1) | instskip(NEXT) | instid1(SALU_CYCLE_1)
	s_cvt_u32_f32 s4, s4
	s_cvt_u32_f32 s5, s5
	s_wait_alu 0xfffe
	s_delay_alu instid0(SALU_CYCLE_1) | instskip(NEXT) | instid1(SALU_CYCLE_1)
	s_mul_i32 s6, s6, s4
	s_mul_i32 s20, s20, s5
	s_mul_hi_u32 s6, s4, s6
	s_delay_alu instid0(SALU_CYCLE_1)
	s_add_co_i32 s4, s4, s6
	s_mul_hi_u32 s6, s5, s20
	s_wait_alu 0xfffe
	v_mul_hi_u32 v2, v4, s4
	v_mov_b32_e32 v5, 0
	s_add_co_i32 s5, s5, s6
	s_clause 0x1
	s_load_b128 s[20:23], s[0:1], 0x9c
	s_load_b64 s[42:43], s[0:1], 0xac
	s_delay_alu instid0(VALU_DEP_2) | instskip(SKIP_1) | instid1(VALU_DEP_2)
	v_mul_lo_u32 v6, v2, s12
	v_add_nc_u32_e32 v8, 1, v2
	v_sub_nc_u32_e32 v9, v4, v6
	s_delay_alu instid0(VALU_DEP_1) | instskip(SKIP_4) | instid1(VALU_DEP_1)
	v_cmp_le_u32_e32 vcc_lo, s12, v9
	s_wait_kmcnt 0x0
	s_mul_i32 s43, s16, s43
	v_cndmask_b32_e32 v2, v2, v8, vcc_lo
	v_subrev_nc_u32_e32 v8, s12, v9
	v_dual_cndmask_b32 v8, v9, v8 :: v_dual_add_nc_u32 v9, 1, v2
	s_delay_alu instid0(VALU_DEP_1) | instskip(SKIP_1) | instid1(VALU_DEP_2)
	v_cmp_le_u32_e32 vcc_lo, s12, v8
	s_wait_alu 0xfffd
	v_dual_cndmask_b32 v2, v2, v9 :: v_dual_and_b32 v1, 31, v0
	s_delay_alu instid0(VALU_DEP_1)
	v_mul_hi_u32 v3, v1, s5
	s_clause 0x3
	s_load_b64 s[30:31], s[0:1], 0x0
	s_load_b96 s[4:6], s[0:1], 0x1c
	s_load_b64 s[34:35], s[0:1], 0x30
	s_load_b96 s[24:26], s[0:1], 0x4c
	s_mul_i32 s1, s36, s23
	s_ashr_i32 s23, s19, 31
	s_sub_co_i32 s12, s1, s20
	s_xor_b32 s1, s2, s41
	v_mul_lo_u32 v7, v3, s44
	s_sub_co_i32 s2, s1, s41
	s_delay_alu instid0(VALU_DEP_1) | instskip(NEXT) | instid1(VALU_DEP_1)
	v_sub_nc_u32_e32 v7, v1, v7
	v_subrev_nc_u32_e32 v10, s44, v7
	v_cmp_le_u32_e64 s0, s44, v7
	s_delay_alu instid0(VALU_DEP_1) | instskip(NEXT) | instid1(VALU_DEP_1)
	v_cndmask_b32_e64 v7, v7, v10, s0
	v_cmp_le_u32_e32 vcc_lo, s44, v7
	v_add_nc_u32_e32 v6, 1, v3
	s_wait_kmcnt 0x0
	s_wait_alu 0xfffe
	s_mul_i32 s44, s25, s2
	v_mov_b32_e32 v7, 0
	s_wait_alu 0xfffe
	s_ashr_i32 s45, s44, 31
	v_cndmask_b32_e64 v3, v3, v6, s0
	s_mul_i32 s0, s5, s27
	s_ashr_i32 s5, s17, 31
	s_wait_alu 0xfffe
	s_ashr_i32 s1, s0, 31
	v_xor_b32_e32 v2, s5, v2
	v_add_nc_u32_e32 v10, 1, v3
	s_wait_alu 0xfffe
	s_lshl_b64 s[0:1], s[0:1], 1
	v_lshlrev_b32_e32 v6, 1, v1
	s_lshl_b64 s[44:45], s[44:45], 1
	v_subrev_nc_u32_e32 v8, s5, v2
	s_wait_alu 0xfffd
	v_cndmask_b32_e32 v3, v3, v10, vcc_lo
	s_wait_alu 0xfffe
	s_add_nc_u64 s[30:31], s[30:31], s[0:1]
	s_mul_i32 s0, s33, s42
	s_add_nc_u64 s[34:35], s[34:35], s[44:45]
	v_mul_lo_u32 v2, v8, s17
	v_xor_b32_e32 v3, s23, v3
	s_sub_co_i32 s5, s43, s22
	s_wait_alu 0xfffe
	s_sub_co_i32 s20, s0, s21
	s_delay_alu instid0(VALU_DEP_1) | instskip(NEXT) | instid1(VALU_DEP_3)
	v_subrev_nc_u32_e32 v9, s23, v3
	v_sub_nc_u32_e32 v10, v4, v2
	s_delay_alu instid0(VALU_DEP_2) | instskip(SKIP_1) | instid1(VALU_DEP_2)
	v_mul_lo_u32 v3, v9, s19
	v_cmp_gt_i32_e32 vcc_lo, s18, v9
	v_sub_nc_u32_e32 v11, v1, v3
	s_branch .LBB41_6
.LBB41_3:                               ;   in Loop: Header=BB41_6 Depth=1
	s_or_b32 exec_lo, exec_lo, s23
.LBB41_4:                               ;   in Loop: Header=BB41_6 Depth=1
	s_wait_alu 0xfffe
	s_or_b32 exec_lo, exec_lo, s22
.LBB41_5:                               ;   in Loop: Header=BB41_6 Depth=1
	s_wait_alu 0xfffe
	s_or_b32 exec_lo, exec_lo, s21
	v_add_nc_u32_e32 v4, s3, v4
	v_add_nc_u32_e32 v10, s3, v10
	s_delay_alu instid0(VALU_DEP_2) | instskip(SKIP_1) | instid1(SALU_CYCLE_1)
	v_cmp_le_i32_e64 s0, s38, v4
	s_or_b32 s40, s0, s40
	s_and_not1_b32 exec_lo, exec_lo, s40
	s_cbranch_execz .LBB41_22
.LBB41_6:                               ; =>This Loop Header: Depth=1
                                        ;     Child Loop BB41_8 Depth 2
                                        ;     Child Loop BB41_14 Depth 2
                                        ;       Child Loop BB41_20 Depth 3
	s_mov_b32 s1, exec_lo
	v_cmpx_le_i32_e64 s17, v10
	s_cbranch_execz .LBB41_10
; %bb.7:                                ;   in Loop: Header=BB41_6 Depth=1
	s_mov_b32 s2, 0
.LBB41_8:                               ;   Parent Loop BB41_6 Depth=1
                                        ; =>  This Inner Loop Header: Depth=2
	v_subrev_nc_u32_e32 v10, s17, v10
	v_add_nc_u32_e32 v8, 1, v8
	s_delay_alu instid0(VALU_DEP_2)
	v_cmp_gt_i32_e64 s0, s17, v10
	s_wait_alu 0xfffe
	s_or_b32 s2, s0, s2
	s_wait_alu 0xfffe
	s_and_not1_b32 exec_lo, exec_lo, s2
	s_cbranch_execnz .LBB41_8
; %bb.9:                                ;   in Loop: Header=BB41_6 Depth=1
	s_or_b32 exec_lo, exec_lo, s2
.LBB41_10:                              ;   in Loop: Header=BB41_6 Depth=1
	s_wait_alu 0xfffe
	s_or_b32 exec_lo, exec_lo, s1
	v_mad_co_u64_u32 v[1:2], null, v10, s11, s[12:13]
	s_delay_alu instid0(VALU_DEP_1)
	v_cmp_lt_i32_e64 s0, -1, v1
	v_cmp_gt_i32_e64 s1, s13, v1
	s_and_b32 s0, s0, s1
	s_wait_alu 0xfffe
	s_and_saveexec_b32 s21, s0
	s_cbranch_execz .LBB41_5
; %bb.11:                               ;   in Loop: Header=BB41_6 Depth=1
	s_and_saveexec_b32 s22, vcc_lo
	s_cbranch_execz .LBB41_4
; %bb.12:                               ;   in Loop: Header=BB41_6 Depth=1
	v_mul_lo_u32 v2, s4, v8
	v_mul_lo_u32 v12, s24, v8
	;; [unrolled: 1-line block ×4, first 2 shown]
	s_mov_b32 s23, 0
	s_delay_alu instid0(VALU_DEP_4) | instskip(NEXT) | instid1(VALU_DEP_4)
	v_ashrrev_i32_e32 v3, 31, v2
	v_ashrrev_i32_e32 v13, 31, v12
	s_delay_alu instid0(VALU_DEP_4) | instskip(NEXT) | instid1(VALU_DEP_4)
	v_ashrrev_i32_e32 v17, 31, v16
	v_ashrrev_i32_e32 v15, 31, v14
	s_delay_alu instid0(VALU_DEP_4) | instskip(NEXT) | instid1(VALU_DEP_4)
	v_lshlrev_b64_e32 v[1:2], 1, v[2:3]
	v_lshlrev_b64_e32 v[12:13], 1, v[12:13]
	s_delay_alu instid0(VALU_DEP_4) | instskip(NEXT) | instid1(VALU_DEP_4)
	v_lshlrev_b64_e32 v[16:17], 1, v[16:17]
	v_lshlrev_b64_e32 v[14:15], 1, v[14:15]
	s_delay_alu instid0(VALU_DEP_4)
	v_add_co_u32 v1, s0, s30, v1
	s_wait_alu 0xf1ff
	v_add_co_ci_u32_e64 v2, null, s31, v2, s0
	v_add_co_u32 v3, s0, s34, v12
	s_wait_alu 0xf1ff
	v_add_co_ci_u32_e64 v13, null, s35, v13, s0
	;; [unrolled: 3-line block ×5, first 2 shown]
	v_dual_mov_b32 v14, v11 :: v_dual_mov_b32 v15, v9
	s_branch .LBB41_14
.LBB41_13:                              ;   in Loop: Header=BB41_14 Depth=2
	s_wait_alu 0xfffe
	s_or_b32 exec_lo, exec_lo, s1
	s_wait_loadcnt 0x0
	v_lshlrev_b32_e32 v3, 16, v16
	v_cmp_le_i32_e64 s0, s18, v15
	v_add_co_u32 v1, s1, v1, 64
	s_wait_alu 0xf1ff
	v_add_co_ci_u32_e64 v2, null, 0, v2, s1
	v_fmac_f32_e32 v7, v17, v3
	s_or_b32 s23, s0, s23
	s_wait_alu 0xfffe
	s_and_not1_b32 exec_lo, exec_lo, s23
	s_cbranch_execz .LBB41_3
.LBB41_14:                              ;   Parent Loop BB41_6 Depth=1
                                        ; =>  This Loop Header: Depth=2
                                        ;       Child Loop BB41_20 Depth 3
	global_load_u16 v16, v[1:2], off
	v_add_nc_u32_e32 v3, s5, v14
	v_mov_b32_e32 v17, 0
	s_mov_b32 s25, exec_lo
	s_delay_alu instid0(VALU_DEP_2)
	v_cmpx_lt_i32_e32 -1, v3
	s_cbranch_execz .LBB41_18
; %bb.15:                               ;   in Loop: Header=BB41_14 Depth=2
	v_dual_mov_b32 v17, 0 :: v_dual_add_nc_u32 v18, s20, v15
	v_cmp_gt_i32_e64 s0, s15, v3
	s_delay_alu instid0(VALU_DEP_2)
	v_cmp_gt_i32_e64 s1, s14, v18
	v_cmp_lt_i32_e64 s2, -1, v18
	s_and_b32 s0, s0, s1
	s_wait_alu 0xfffe
	s_and_b32 s0, s0, s2
	s_wait_alu 0xfffe
	s_and_saveexec_b32 s1, s0
	s_cbranch_execz .LBB41_17
; %bb.16:                               ;   in Loop: Header=BB41_14 Depth=2
	v_mad_co_u64_u32 v[17:18], null, v18, s15, v[3:4]
	v_mov_b32_e32 v18, v5
	s_delay_alu instid0(VALU_DEP_1) | instskip(NEXT) | instid1(VALU_DEP_1)
	v_lshlrev_b64_e32 v[17:18], 1, v[17:18]
	v_add_co_u32 v17, s0, v12, v17
	s_wait_alu 0xf1ff
	s_delay_alu instid0(VALU_DEP_2)
	v_add_co_ci_u32_e64 v18, null, v13, v18, s0
	global_load_u16 v3, v[17:18], off
	s_wait_loadcnt 0x0
	v_lshlrev_b32_e32 v17, 16, v3
.LBB41_17:                              ;   in Loop: Header=BB41_14 Depth=2
	s_wait_alu 0xfffe
	s_or_b32 exec_lo, exec_lo, s1
.LBB41_18:                              ;   in Loop: Header=BB41_14 Depth=2
	s_wait_alu 0xfffe
	s_or_b32 exec_lo, exec_lo, s25
	v_add_nc_u32_e32 v14, 32, v14
	s_mov_b32 s1, exec_lo
	s_delay_alu instid0(VALU_DEP_1)
	v_cmpx_le_i32_e64 s19, v14
	s_cbranch_execz .LBB41_13
; %bb.19:                               ;   in Loop: Header=BB41_14 Depth=2
	s_mov_b32 s2, 0
.LBB41_20:                              ;   Parent Loop BB41_6 Depth=1
                                        ;     Parent Loop BB41_14 Depth=2
                                        ; =>    This Inner Loop Header: Depth=3
	v_subrev_nc_u32_e32 v14, s19, v14
	v_add_nc_u32_e32 v15, 1, v15
	s_delay_alu instid0(VALU_DEP_2)
	v_cmp_gt_i32_e64 s0, s19, v14
	s_wait_alu 0xfffe
	s_or_b32 s2, s0, s2
	s_wait_alu 0xfffe
	s_and_not1_b32 exec_lo, exec_lo, s2
	s_cbranch_execnz .LBB41_20
; %bb.21:                               ;   in Loop: Header=BB41_14 Depth=2
	s_or_b32 exec_lo, exec_lo, s2
	s_branch .LBB41_13
.LBB41_22:
	s_or_b32 exec_lo, exec_lo, s40
.LBB41_23:
	s_delay_alu instid0(SALU_CYCLE_1)
	s_or_b32 exec_lo, exec_lo, s39
	s_load_b64 s[0:1], s[28:29], 0x0
	v_bfe_u32 v1, v7, 16, 1
	v_cmp_o_f32_e32 vcc_lo, v7, v7
	s_bcnt1_i32_b32 s3, s37
	s_mov_b32 s2, -1
	s_wait_alu 0xfffe
	s_cmp_lg_u32 s3, 1
	v_add3_u32 v1, v7, v1, 0x7fff
	s_delay_alu instid0(VALU_DEP_1) | instskip(SKIP_2) | instid1(VALU_DEP_2)
	v_lshrrev_b32_e32 v2, 16, v1
	v_lshl_add_u32 v1, v0, 1, 0
	s_wait_alu 0xfffd
	v_cndmask_b32_e32 v2, 0x7fc0, v2, vcc_lo
	ds_store_b16 v1, v2
	s_wait_dscnt 0x0
	s_barrier_signal -1
	s_barrier_wait -1
	global_inv scope:SCOPE_SE
	s_cbranch_scc1 .LBB41_32
; %bb.24:
	s_and_not1_b32 vcc_lo, exec_lo, s2
	s_wait_alu 0xfffe
	s_cbranch_vccnz .LBB41_28
.LBB41_25:
	s_cmp_lt_u32 s37, 2
	s_cbranch_scc0 .LBB41_30
.LBB41_26:
	s_mov_b32 s2, exec_lo
	v_cmpx_eq_u32_e32 0, v0
	s_cbranch_execz .LBB41_28
; %bb.27:
	v_mov_b32_e32 v0, 0
	s_mul_i32 s2, s7, s27
	s_mul_i32 s4, s8, s36
	s_wait_alu 0xfffe
	s_ashr_i32 s3, s2, 31
	s_ashr_i32 s5, s4, 31
	ds_load_u16 v1, v0
	s_wait_alu 0xfffe
	s_lshl_b64 s[2:3], s[2:3], 1
	s_wait_kmcnt 0x0
	s_wait_alu 0xfffe
	s_add_nc_u64 s[0:1], s[0:1], s[2:3]
	s_lshl_b64 s[2:3], s[4:5], 1
	s_mul_i32 s4, s9, s33
	s_wait_alu 0xfffe
	s_add_nc_u64 s[0:1], s[0:1], s[2:3]
	s_ashr_i32 s5, s4, 31
	s_mul_i32 s2, s10, s16
	s_wait_alu 0xfffe
	s_lshl_b64 s[4:5], s[4:5], 1
	s_ashr_i32 s3, s2, 31
	s_wait_alu 0xfffe
	s_add_nc_u64 s[0:1], s[0:1], s[4:5]
	s_lshl_b64 s[2:3], s[2:3], 1
	s_wait_alu 0xfffe
	s_add_nc_u64 s[0:1], s[0:1], s[2:3]
	s_wait_dscnt 0x0
	global_store_b16 v0, v1, s[0:1]
.LBB41_28:
	s_endpgm
.LBB41_29:                              ;   in Loop: Header=BB41_30 Depth=1
	s_or_b32 exec_lo, exec_lo, s3
	s_cmp_lt_u32 s37, 4
	s_mov_b32 s37, s2
	s_wait_loadcnt_dscnt 0x0
	s_barrier_signal -1
	s_barrier_wait -1
	global_inv scope:SCOPE_SE
	s_cbranch_scc1 .LBB41_26
.LBB41_30:                              ; =>This Inner Loop Header: Depth=1
	s_lshr_b32 s2, s37, 1
	s_mov_b32 s3, exec_lo
	s_wait_alu 0xfffe
	v_cmpx_gt_u32_e64 s2, v0
	s_cbranch_execz .LBB41_29
; %bb.31:                               ;   in Loop: Header=BB41_30 Depth=1
	v_lshl_add_u32 v2, s2, 1, v1
	ds_load_u16 v2, v2
	ds_load_u16 v3, v1
	s_wait_dscnt 0x1
	v_lshlrev_b32_e32 v2, 16, v2
	s_wait_dscnt 0x0
	v_lshlrev_b32_e32 v3, 16, v3
	s_delay_alu instid0(VALU_DEP_1) | instskip(NEXT) | instid1(VALU_DEP_1)
	v_add_f32_e32 v2, v2, v3
	v_bfe_u32 v3, v2, 16, 1
	v_cmp_o_f32_e32 vcc_lo, v2, v2
	s_delay_alu instid0(VALU_DEP_2) | instskip(NEXT) | instid1(VALU_DEP_1)
	v_add3_u32 v3, v2, v3, 0x7fff
	v_lshrrev_b32_e32 v3, 16, v3
	s_wait_alu 0xfffd
	s_delay_alu instid0(VALU_DEP_1)
	v_cndmask_b32_e32 v2, 0x7fc0, v3, vcc_lo
	ds_store_b16 v1, v2
	s_branch .LBB41_29
.LBB41_32:
	s_trap 2
	; divergent unreachable
	s_cbranch_execz .LBB41_25
	s_branch .LBB41_28
	.section	.rodata,"a",@progbits
	.p2align	6, 0x0
	.amdhsa_kernel _ZN2at6native12_GLOBAL__N_144conv_depthwise3d_cuda_backward_weight_kernelIN3c108BFloat16EfLi1ELi1EEEvN5torch10headeronly6detail27GenericPackedTensorAccessorINS7_14TensorAccessorINS3_8ArrayRefIlEEKT_Lm4ENS6_16DefaultPtrTraitsEiEENS_6detail16IndexBoundsCheckILm5EiEESD_Lm5ESE_iEESJ_NS8_INS9_ISB_SC_Lm4ESE_iEESI_SC_Lm5ESE_iEEiiiiiiiii
		.amdhsa_group_segment_fixed_size 0
		.amdhsa_private_segment_fixed_size 0
		.amdhsa_kernarg_size 440
		.amdhsa_user_sgpr_count 2
		.amdhsa_user_sgpr_dispatch_ptr 0
		.amdhsa_user_sgpr_queue_ptr 0
		.amdhsa_user_sgpr_kernarg_segment_ptr 1
		.amdhsa_user_sgpr_dispatch_id 0
		.amdhsa_user_sgpr_private_segment_size 0
		.amdhsa_wavefront_size32 1
		.amdhsa_uses_dynamic_stack 0
		.amdhsa_enable_private_segment 0
		.amdhsa_system_sgpr_workgroup_id_x 1
		.amdhsa_system_sgpr_workgroup_id_y 0
		.amdhsa_system_sgpr_workgroup_id_z 0
		.amdhsa_system_sgpr_workgroup_info 0
		.amdhsa_system_vgpr_workitem_id 0
		.amdhsa_next_free_vgpr 19
		.amdhsa_next_free_sgpr 46
		.amdhsa_reserve_vcc 1
		.amdhsa_float_round_mode_32 0
		.amdhsa_float_round_mode_16_64 0
		.amdhsa_float_denorm_mode_32 3
		.amdhsa_float_denorm_mode_16_64 3
		.amdhsa_fp16_overflow 0
		.amdhsa_workgroup_processor_mode 1
		.amdhsa_memory_ordered 1
		.amdhsa_forward_progress 1
		.amdhsa_inst_pref_size 20
		.amdhsa_round_robin_scheduling 0
		.amdhsa_exception_fp_ieee_invalid_op 0
		.amdhsa_exception_fp_denorm_src 0
		.amdhsa_exception_fp_ieee_div_zero 0
		.amdhsa_exception_fp_ieee_overflow 0
		.amdhsa_exception_fp_ieee_underflow 0
		.amdhsa_exception_fp_ieee_inexact 0
		.amdhsa_exception_int_div_zero 0
	.end_amdhsa_kernel
	.section	.text._ZN2at6native12_GLOBAL__N_144conv_depthwise3d_cuda_backward_weight_kernelIN3c108BFloat16EfLi1ELi1EEEvN5torch10headeronly6detail27GenericPackedTensorAccessorINS7_14TensorAccessorINS3_8ArrayRefIlEEKT_Lm4ENS6_16DefaultPtrTraitsEiEENS_6detail16IndexBoundsCheckILm5EiEESD_Lm5ESE_iEESJ_NS8_INS9_ISB_SC_Lm4ESE_iEESI_SC_Lm5ESE_iEEiiiiiiiii,"axG",@progbits,_ZN2at6native12_GLOBAL__N_144conv_depthwise3d_cuda_backward_weight_kernelIN3c108BFloat16EfLi1ELi1EEEvN5torch10headeronly6detail27GenericPackedTensorAccessorINS7_14TensorAccessorINS3_8ArrayRefIlEEKT_Lm4ENS6_16DefaultPtrTraitsEiEENS_6detail16IndexBoundsCheckILm5EiEESD_Lm5ESE_iEESJ_NS8_INS9_ISB_SC_Lm4ESE_iEESI_SC_Lm5ESE_iEEiiiiiiiii,comdat
.Lfunc_end41:
	.size	_ZN2at6native12_GLOBAL__N_144conv_depthwise3d_cuda_backward_weight_kernelIN3c108BFloat16EfLi1ELi1EEEvN5torch10headeronly6detail27GenericPackedTensorAccessorINS7_14TensorAccessorINS3_8ArrayRefIlEEKT_Lm4ENS6_16DefaultPtrTraitsEiEENS_6detail16IndexBoundsCheckILm5EiEESD_Lm5ESE_iEESJ_NS8_INS9_ISB_SC_Lm4ESE_iEESI_SC_Lm5ESE_iEEiiiiiiiii, .Lfunc_end41-_ZN2at6native12_GLOBAL__N_144conv_depthwise3d_cuda_backward_weight_kernelIN3c108BFloat16EfLi1ELi1EEEvN5torch10headeronly6detail27GenericPackedTensorAccessorINS7_14TensorAccessorINS3_8ArrayRefIlEEKT_Lm4ENS6_16DefaultPtrTraitsEiEENS_6detail16IndexBoundsCheckILm5EiEESD_Lm5ESE_iEESJ_NS8_INS9_ISB_SC_Lm4ESE_iEESI_SC_Lm5ESE_iEEiiiiiiiii
                                        ; -- End function
	.set _ZN2at6native12_GLOBAL__N_144conv_depthwise3d_cuda_backward_weight_kernelIN3c108BFloat16EfLi1ELi1EEEvN5torch10headeronly6detail27GenericPackedTensorAccessorINS7_14TensorAccessorINS3_8ArrayRefIlEEKT_Lm4ENS6_16DefaultPtrTraitsEiEENS_6detail16IndexBoundsCheckILm5EiEESD_Lm5ESE_iEESJ_NS8_INS9_ISB_SC_Lm4ESE_iEESI_SC_Lm5ESE_iEEiiiiiiiii.num_vgpr, 19
	.set _ZN2at6native12_GLOBAL__N_144conv_depthwise3d_cuda_backward_weight_kernelIN3c108BFloat16EfLi1ELi1EEEvN5torch10headeronly6detail27GenericPackedTensorAccessorINS7_14TensorAccessorINS3_8ArrayRefIlEEKT_Lm4ENS6_16DefaultPtrTraitsEiEENS_6detail16IndexBoundsCheckILm5EiEESD_Lm5ESE_iEESJ_NS8_INS9_ISB_SC_Lm4ESE_iEESI_SC_Lm5ESE_iEEiiiiiiiii.num_agpr, 0
	.set _ZN2at6native12_GLOBAL__N_144conv_depthwise3d_cuda_backward_weight_kernelIN3c108BFloat16EfLi1ELi1EEEvN5torch10headeronly6detail27GenericPackedTensorAccessorINS7_14TensorAccessorINS3_8ArrayRefIlEEKT_Lm4ENS6_16DefaultPtrTraitsEiEENS_6detail16IndexBoundsCheckILm5EiEESD_Lm5ESE_iEESJ_NS8_INS9_ISB_SC_Lm4ESE_iEESI_SC_Lm5ESE_iEEiiiiiiiii.numbered_sgpr, 46
	.set _ZN2at6native12_GLOBAL__N_144conv_depthwise3d_cuda_backward_weight_kernelIN3c108BFloat16EfLi1ELi1EEEvN5torch10headeronly6detail27GenericPackedTensorAccessorINS7_14TensorAccessorINS3_8ArrayRefIlEEKT_Lm4ENS6_16DefaultPtrTraitsEiEENS_6detail16IndexBoundsCheckILm5EiEESD_Lm5ESE_iEESJ_NS8_INS9_ISB_SC_Lm4ESE_iEESI_SC_Lm5ESE_iEEiiiiiiiii.num_named_barrier, 0
	.set _ZN2at6native12_GLOBAL__N_144conv_depthwise3d_cuda_backward_weight_kernelIN3c108BFloat16EfLi1ELi1EEEvN5torch10headeronly6detail27GenericPackedTensorAccessorINS7_14TensorAccessorINS3_8ArrayRefIlEEKT_Lm4ENS6_16DefaultPtrTraitsEiEENS_6detail16IndexBoundsCheckILm5EiEESD_Lm5ESE_iEESJ_NS8_INS9_ISB_SC_Lm4ESE_iEESI_SC_Lm5ESE_iEEiiiiiiiii.private_seg_size, 0
	.set _ZN2at6native12_GLOBAL__N_144conv_depthwise3d_cuda_backward_weight_kernelIN3c108BFloat16EfLi1ELi1EEEvN5torch10headeronly6detail27GenericPackedTensorAccessorINS7_14TensorAccessorINS3_8ArrayRefIlEEKT_Lm4ENS6_16DefaultPtrTraitsEiEENS_6detail16IndexBoundsCheckILm5EiEESD_Lm5ESE_iEESJ_NS8_INS9_ISB_SC_Lm4ESE_iEESI_SC_Lm5ESE_iEEiiiiiiiii.uses_vcc, 1
	.set _ZN2at6native12_GLOBAL__N_144conv_depthwise3d_cuda_backward_weight_kernelIN3c108BFloat16EfLi1ELi1EEEvN5torch10headeronly6detail27GenericPackedTensorAccessorINS7_14TensorAccessorINS3_8ArrayRefIlEEKT_Lm4ENS6_16DefaultPtrTraitsEiEENS_6detail16IndexBoundsCheckILm5EiEESD_Lm5ESE_iEESJ_NS8_INS9_ISB_SC_Lm4ESE_iEESI_SC_Lm5ESE_iEEiiiiiiiii.uses_flat_scratch, 0
	.set _ZN2at6native12_GLOBAL__N_144conv_depthwise3d_cuda_backward_weight_kernelIN3c108BFloat16EfLi1ELi1EEEvN5torch10headeronly6detail27GenericPackedTensorAccessorINS7_14TensorAccessorINS3_8ArrayRefIlEEKT_Lm4ENS6_16DefaultPtrTraitsEiEENS_6detail16IndexBoundsCheckILm5EiEESD_Lm5ESE_iEESJ_NS8_INS9_ISB_SC_Lm4ESE_iEESI_SC_Lm5ESE_iEEiiiiiiiii.has_dyn_sized_stack, 0
	.set _ZN2at6native12_GLOBAL__N_144conv_depthwise3d_cuda_backward_weight_kernelIN3c108BFloat16EfLi1ELi1EEEvN5torch10headeronly6detail27GenericPackedTensorAccessorINS7_14TensorAccessorINS3_8ArrayRefIlEEKT_Lm4ENS6_16DefaultPtrTraitsEiEENS_6detail16IndexBoundsCheckILm5EiEESD_Lm5ESE_iEESJ_NS8_INS9_ISB_SC_Lm4ESE_iEESI_SC_Lm5ESE_iEEiiiiiiiii.has_recursion, 0
	.set _ZN2at6native12_GLOBAL__N_144conv_depthwise3d_cuda_backward_weight_kernelIN3c108BFloat16EfLi1ELi1EEEvN5torch10headeronly6detail27GenericPackedTensorAccessorINS7_14TensorAccessorINS3_8ArrayRefIlEEKT_Lm4ENS6_16DefaultPtrTraitsEiEENS_6detail16IndexBoundsCheckILm5EiEESD_Lm5ESE_iEESJ_NS8_INS9_ISB_SC_Lm4ESE_iEESI_SC_Lm5ESE_iEEiiiiiiiii.has_indirect_call, 0
	.section	.AMDGPU.csdata,"",@progbits
; Kernel info:
; codeLenInByte = 2448
; TotalNumSgprs: 48
; NumVgprs: 19
; ScratchSize: 0
; MemoryBound: 0
; FloatMode: 240
; IeeeMode: 1
; LDSByteSize: 0 bytes/workgroup (compile time only)
; SGPRBlocks: 0
; VGPRBlocks: 2
; NumSGPRsForWavesPerEU: 48
; NumVGPRsForWavesPerEU: 19
; Occupancy: 16
; WaveLimiterHint : 1
; COMPUTE_PGM_RSRC2:SCRATCH_EN: 0
; COMPUTE_PGM_RSRC2:USER_SGPR: 2
; COMPUTE_PGM_RSRC2:TRAP_HANDLER: 0
; COMPUTE_PGM_RSRC2:TGID_X_EN: 1
; COMPUTE_PGM_RSRC2:TGID_Y_EN: 0
; COMPUTE_PGM_RSRC2:TGID_Z_EN: 0
; COMPUTE_PGM_RSRC2:TIDIG_COMP_CNT: 0
	.section	.text._ZN2at6native12_GLOBAL__N_144conv_depthwise3d_cuda_backward_weight_kernelIN3c108BFloat16EfLi2ELi2EEEvN5torch10headeronly6detail27GenericPackedTensorAccessorINS7_14TensorAccessorINS3_8ArrayRefIlEEKT_Lm4ENS6_16DefaultPtrTraitsEiEENS_6detail16IndexBoundsCheckILm5EiEESD_Lm5ESE_iEESJ_NS8_INS9_ISB_SC_Lm4ESE_iEESI_SC_Lm5ESE_iEEiiiiiiiii,"axG",@progbits,_ZN2at6native12_GLOBAL__N_144conv_depthwise3d_cuda_backward_weight_kernelIN3c108BFloat16EfLi2ELi2EEEvN5torch10headeronly6detail27GenericPackedTensorAccessorINS7_14TensorAccessorINS3_8ArrayRefIlEEKT_Lm4ENS6_16DefaultPtrTraitsEiEENS_6detail16IndexBoundsCheckILm5EiEESD_Lm5ESE_iEESJ_NS8_INS9_ISB_SC_Lm4ESE_iEESI_SC_Lm5ESE_iEEiiiiiiiii,comdat
	.globl	_ZN2at6native12_GLOBAL__N_144conv_depthwise3d_cuda_backward_weight_kernelIN3c108BFloat16EfLi2ELi2EEEvN5torch10headeronly6detail27GenericPackedTensorAccessorINS7_14TensorAccessorINS3_8ArrayRefIlEEKT_Lm4ENS6_16DefaultPtrTraitsEiEENS_6detail16IndexBoundsCheckILm5EiEESD_Lm5ESE_iEESJ_NS8_INS9_ISB_SC_Lm4ESE_iEESI_SC_Lm5ESE_iEEiiiiiiiii ; -- Begin function _ZN2at6native12_GLOBAL__N_144conv_depthwise3d_cuda_backward_weight_kernelIN3c108BFloat16EfLi2ELi2EEEvN5torch10headeronly6detail27GenericPackedTensorAccessorINS7_14TensorAccessorINS3_8ArrayRefIlEEKT_Lm4ENS6_16DefaultPtrTraitsEiEENS_6detail16IndexBoundsCheckILm5EiEESD_Lm5ESE_iEESJ_NS8_INS9_ISB_SC_Lm4ESE_iEESI_SC_Lm5ESE_iEEiiiiiiiii
	.p2align	8
	.type	_ZN2at6native12_GLOBAL__N_144conv_depthwise3d_cuda_backward_weight_kernelIN3c108BFloat16EfLi2ELi2EEEvN5torch10headeronly6detail27GenericPackedTensorAccessorINS7_14TensorAccessorINS3_8ArrayRefIlEEKT_Lm4ENS6_16DefaultPtrTraitsEiEENS_6detail16IndexBoundsCheckILm5EiEESD_Lm5ESE_iEESJ_NS8_INS9_ISB_SC_Lm4ESE_iEESI_SC_Lm5ESE_iEEiiiiiiiii,@function
_ZN2at6native12_GLOBAL__N_144conv_depthwise3d_cuda_backward_weight_kernelIN3c108BFloat16EfLi2ELi2EEEvN5torch10headeronly6detail27GenericPackedTensorAccessorINS7_14TensorAccessorINS3_8ArrayRefIlEEKT_Lm4ENS6_16DefaultPtrTraitsEiEENS_6detail16IndexBoundsCheckILm5EiEESD_Lm5ESE_iEESJ_NS8_INS9_ISB_SC_Lm4ESE_iEESI_SC_Lm5ESE_iEEiiiiiiiii: ; @_ZN2at6native12_GLOBAL__N_144conv_depthwise3d_cuda_backward_weight_kernelIN3c108BFloat16EfLi2ELi2EEEvN5torch10headeronly6detail27GenericPackedTensorAccessorINS7_14TensorAccessorINS3_8ArrayRefIlEEKT_Lm4ENS6_16DefaultPtrTraitsEiEENS_6detail16IndexBoundsCheckILm5EiEESD_Lm5ESE_iEESJ_NS8_INS9_ISB_SC_Lm4ESE_iEESI_SC_Lm5ESE_iEEiiiiiiiii
; %bb.0:
	s_clause 0x2
	s_load_b128 s[4:7], s[0:1], 0x70
	s_load_b128 s[12:15], s[0:1], 0x3c
	;; [unrolled: 1-line block ×3, first 2 shown]
	s_wait_kmcnt 0x0
	s_cvt_f32_u32 s2, s6
	s_cvt_f32_u32 s3, s5
	s_sub_co_i32 s8, 0, s6
	s_delay_alu instid0(SALU_CYCLE_1) | instskip(NEXT) | instid1(TRANS32_DEP_1)
	v_rcp_iflag_f32_e32 v1, s2
	v_readfirstlane_b32 s2, v1
	v_rcp_iflag_f32_e32 v1, s3
	s_mul_f32 s2, s2, 0x4f7ffffe
	s_wait_alu 0xfffe
	s_delay_alu instid0(SALU_CYCLE_2) | instskip(NEXT) | instid1(TRANS32_DEP_1)
	s_cvt_u32_f32 s2, s2
	v_readfirstlane_b32 s9, v1
	s_wait_alu 0xfffe
	s_delay_alu instid0(SALU_CYCLE_1) | instskip(NEXT) | instid1(SALU_CYCLE_1)
	s_mul_i32 s8, s8, s2
	s_mul_hi_u32 s3, s2, s8
	s_mul_f32 s9, s9, 0x4f7ffffe
	s_wait_alu 0xfffe
	s_add_co_i32 s2, s2, s3
	s_cvt_f32_u32 s3, s4
	s_wait_alu 0xfffe
	s_mul_hi_u32 s2, ttmp9, s2
	s_wait_alu 0xfffe
	s_mul_i32 s8, s2, s6
	s_add_co_i32 s10, s2, 1
	s_sub_co_i32 s8, ttmp9, s8
	v_rcp_iflag_f32_e32 v1, s3
	s_sub_co_i32 s11, s8, s6
	s_cmp_ge_u32 s8, s6
	s_cselect_b32 s2, s10, s2
	s_cselect_b32 s8, s11, s8
	s_wait_alu 0xfffe
	s_add_co_i32 s10, s2, 1
	s_cmp_ge_u32 s8, s6
	s_cvt_u32_f32 s8, s9
	s_cselect_b32 s2, s10, s2
	s_sub_co_i32 s9, 0, s5
	s_delay_alu instid0(SALU_CYCLE_1) | instskip(NEXT) | instid1(SALU_CYCLE_1)
	s_mul_i32 s9, s9, s8
	s_mul_hi_u32 s3, s8, s9
	v_readfirstlane_b32 s9, v1
	s_wait_alu 0xfffe
	s_add_co_i32 s8, s8, s3
	s_delay_alu instid0(SALU_CYCLE_1)
	s_mul_hi_u32 s3, s2, s8
	s_wait_alu 0xfffe
	s_mul_i32 s8, s3, s5
	s_add_co_i32 s10, s3, 1
	s_sub_co_i32 s8, s2, s8
	s_mul_f32 s9, s9, 0x4f7ffffe
	s_sub_co_i32 s11, s8, s5
	s_cmp_ge_u32 s8, s5
	s_cselect_b32 s3, s10, s3
	s_cselect_b32 s8, s11, s8
	s_wait_alu 0xfffe
	s_add_co_i32 s10, s3, 1
	s_cmp_ge_u32 s8, s5
	s_cvt_u32_f32 s8, s9
	s_cselect_b32 s20, s10, s3
	s_sub_co_i32 s3, 0, s4
	s_wait_alu 0xfffe
	s_mul_i32 s3, s3, s8
	s_wait_alu 0xfffe
	s_mul_hi_u32 s3, s8, s3
	s_wait_alu 0xfffe
	s_add_co_i32 s8, s8, s3
	s_delay_alu instid0(SALU_CYCLE_1) | instskip(SKIP_4) | instid1(SALU_CYCLE_1)
	s_mul_hi_u32 s3, s20, s8
	s_wait_alu 0xfffe
	s_mul_i32 s8, s3, s4
	s_add_co_i32 s9, s3, 1
	s_sub_co_i32 s8, s20, s8
	s_sub_co_i32 s10, s8, s4
	s_cmp_ge_u32 s8, s4
	s_cselect_b32 s3, s9, s3
	s_cselect_b32 s8, s10, s8
	s_wait_alu 0xfffe
	s_add_co_i32 s9, s3, 1
	s_cmp_ge_u32 s8, s4
	s_cselect_b32 s27, s9, s3
	s_abs_i32 s3, s12
	s_abs_i32 s10, s16
	s_wait_alu 0xfffe
	s_cvt_f32_u32 s8, s3
	s_sub_co_i32 s9, 0, s3
	s_delay_alu instid0(SALU_CYCLE_2) | instskip(NEXT) | instid1(TRANS32_DEP_1)
	v_rcp_iflag_f32_e32 v1, s8
	v_readfirstlane_b32 s8, v1
	s_mul_f32 s8, s8, 0x4f7ffffe
	s_wait_alu 0xfffe
	s_delay_alu instid0(SALU_CYCLE_2) | instskip(SKIP_1) | instid1(SALU_CYCLE_2)
	s_cvt_u32_f32 s8, s8
	s_wait_alu 0xfffe
	s_mul_i32 s9, s9, s8
	s_wait_alu 0xfffe
	s_mul_hi_u32 s9, s8, s9
	s_wait_alu 0xfffe
	s_add_co_i32 s8, s8, s9
	s_xor_b32 s9, s16, s12
	s_wait_alu 0xfffe
	s_mul_hi_u32 s8, s10, s8
	s_ashr_i32 s9, s9, 31
	s_wait_alu 0xfffe
	s_mul_i32 s11, s8, s3
	s_delay_alu instid0(SALU_CYCLE_1)
	s_sub_co_i32 s10, s10, s11
	s_add_co_i32 s11, s8, 1
	s_sub_co_i32 s12, s10, s3
	s_cmp_ge_u32 s10, s3
	s_cselect_b32 s8, s11, s8
	s_cselect_b32 s10, s12, s10
	s_wait_alu 0xfffe
	s_add_co_i32 s11, s8, 1
	s_cmp_ge_u32 s10, s3
	s_cselect_b32 s3, s11, s8
	s_load_b32 s8, s[0:1], 0x68
	s_xor_b32 s3, s3, s9
	s_wait_alu 0xfffe
	s_sub_co_i32 s21, s3, s9
	s_delay_alu instid0(SALU_CYCLE_1) | instskip(NEXT) | instid1(SALU_CYCLE_1)
	s_abs_i32 s12, s21
	s_cvt_f32_u32 s3, s12
	s_wait_alu 0xfffe
	s_delay_alu instid0(SALU_CYCLE_2) | instskip(SKIP_3) | instid1(TRANS32_DEP_1)
	v_rcp_iflag_f32_e32 v1, s3
	s_mov_b32 s3, 0
	s_wait_kmcnt 0x0
	s_cmp_ge_i32 s27, s8
	v_readfirstlane_b32 s22, v1
	s_cbranch_scc1 .LBB42_28
; %bb.1:
	s_load_b32 s38, s[0:1], 0x38
	s_add_nc_u64 s[28:29], s[0:1], 0x60
	s_load_b32 s23, s[0:1], 0xc4
	s_load_b128 s[8:11], s[28:29], 0x24
	v_lshrrev_b32_e32 v4, 5, v0
	v_mov_b32_e32 v7, 0
	s_mul_i32 s6, s2, s6
	s_mul_i32 s5, s20, s5
	;; [unrolled: 1-line block ×3, first 2 shown]
	s_sub_co_i32 s16, ttmp9, s6
	s_sub_co_i32 s33, s2, s5
	s_sub_co_i32 s36, s20, s4
	s_mov_b32 s39, exec_lo
	s_wait_kmcnt 0x0
	s_mul_i32 s38, s38, s17
	s_and_b32 s37, s23, 0xffff
	v_cmpx_gt_i32_e64 s38, v4
	s_cbranch_execz .LBB42_23
; %bb.2:
	s_mul_f32 s2, s22, 0x4f7ffffe
	s_mov_b32 s40, 0
	s_wait_alu 0xfffe
	s_delay_alu instid0(SALU_CYCLE_1) | instskip(SKIP_2) | instid1(SALU_CYCLE_1)
	s_cvt_u32_f32 s4, s2
	s_sub_co_i32 s2, 0, s12
	s_wait_alu 0xfffe
	s_mul_i32 s5, s2, s4
	s_abs_i32 s2, s27
	s_mul_hi_u32 s6, s4, s5
	s_mov_b32 s5, s3
	s_add_co_i32 s4, s4, s6
	s_ashr_i32 s6, s21, 31
	s_wait_alu 0xfffe
	s_mul_u64 s[4:5], s[2:3], s[4:5]
	s_ashr_i32 s4, s27, 31
	s_mul_i32 s20, s5, s12
	s_lshr_b32 s3, s37, 5
	s_sub_co_i32 s2, s2, s20
	s_xor_b32 s41, s4, s6
	s_add_co_i32 s4, s5, 1
	s_wait_alu 0xfffe
	s_sub_co_i32 s6, s2, s12
	s_cmp_ge_u32 s2, s12
	s_cselect_b32 s4, s4, s5
	s_cselect_b32 s2, s6, s2
	s_add_co_i32 s5, s4, 1
	s_wait_alu 0xfffe
	s_cmp_ge_u32 s2, s12
	s_cselect_b32 s2, s5, s4
	s_abs_i32 s12, s17
	s_abs_i32 s44, s19
	s_cvt_f32_u32 s4, s12
	s_cvt_f32_u32 s5, s44
	s_sub_co_i32 s6, 0, s12
	s_sub_co_i32 s20, 0, s44
	v_rcp_iflag_f32_e32 v1, s4
	v_rcp_iflag_f32_e32 v2, s5
	s_delay_alu instid0(TRANS32_DEP_2) | instskip(NEXT) | instid1(TRANS32_DEP_1)
	v_readfirstlane_b32 s4, v1
	v_readfirstlane_b32 s5, v2
	s_mul_f32 s4, s4, 0x4f7ffffe
	s_mul_f32 s5, s5, 0x4f7ffffe
	s_wait_alu 0xfffe
	s_delay_alu instid0(SALU_CYCLE_1) | instskip(NEXT) | instid1(SALU_CYCLE_1)
	s_cvt_u32_f32 s4, s4
	s_cvt_u32_f32 s5, s5
	s_wait_alu 0xfffe
	s_delay_alu instid0(SALU_CYCLE_1) | instskip(NEXT) | instid1(SALU_CYCLE_1)
	s_mul_i32 s6, s6, s4
	s_mul_i32 s20, s20, s5
	s_mul_hi_u32 s6, s4, s6
	s_delay_alu instid0(SALU_CYCLE_1)
	s_add_co_i32 s4, s4, s6
	s_mul_hi_u32 s6, s5, s20
	s_wait_alu 0xfffe
	v_mul_hi_u32 v2, v4, s4
	v_mov_b32_e32 v5, 0
	s_add_co_i32 s5, s5, s6
	s_clause 0x1
	s_load_b128 s[20:23], s[0:1], 0x9c
	s_load_b64 s[42:43], s[0:1], 0xac
	s_delay_alu instid0(VALU_DEP_2) | instskip(SKIP_1) | instid1(VALU_DEP_2)
	v_mul_lo_u32 v6, v2, s12
	v_add_nc_u32_e32 v8, 1, v2
	v_sub_nc_u32_e32 v9, v4, v6
	s_delay_alu instid0(VALU_DEP_1) | instskip(SKIP_4) | instid1(VALU_DEP_1)
	v_cmp_le_u32_e32 vcc_lo, s12, v9
	s_wait_kmcnt 0x0
	s_mul_i32 s43, s16, s43
	v_cndmask_b32_e32 v2, v2, v8, vcc_lo
	v_subrev_nc_u32_e32 v8, s12, v9
	v_dual_cndmask_b32 v8, v9, v8 :: v_dual_add_nc_u32 v9, 1, v2
	s_delay_alu instid0(VALU_DEP_1) | instskip(SKIP_1) | instid1(VALU_DEP_2)
	v_cmp_le_u32_e32 vcc_lo, s12, v8
	s_wait_alu 0xfffd
	v_dual_cndmask_b32 v2, v2, v9 :: v_dual_and_b32 v1, 31, v0
	s_delay_alu instid0(VALU_DEP_1)
	v_mul_hi_u32 v3, v1, s5
	s_clause 0x3
	s_load_b64 s[30:31], s[0:1], 0x0
	s_load_b96 s[4:6], s[0:1], 0x1c
	s_load_b64 s[34:35], s[0:1], 0x30
	s_load_b96 s[24:26], s[0:1], 0x4c
	s_mul_i32 s1, s36, s23
	s_ashr_i32 s23, s19, 31
	s_sub_co_i32 s12, s1, s20
	s_xor_b32 s1, s2, s41
	v_mul_lo_u32 v7, v3, s44
	s_sub_co_i32 s2, s1, s41
	s_delay_alu instid0(VALU_DEP_1) | instskip(NEXT) | instid1(VALU_DEP_1)
	v_sub_nc_u32_e32 v7, v1, v7
	v_subrev_nc_u32_e32 v10, s44, v7
	v_cmp_le_u32_e64 s0, s44, v7
	s_delay_alu instid0(VALU_DEP_1) | instskip(NEXT) | instid1(VALU_DEP_1)
	v_cndmask_b32_e64 v7, v7, v10, s0
	v_cmp_le_u32_e32 vcc_lo, s44, v7
	v_add_nc_u32_e32 v6, 1, v3
	s_wait_kmcnt 0x0
	s_wait_alu 0xfffe
	s_mul_i32 s44, s25, s2
	v_mov_b32_e32 v7, 0
	s_wait_alu 0xfffe
	s_ashr_i32 s45, s44, 31
	v_cndmask_b32_e64 v3, v3, v6, s0
	s_mul_i32 s0, s5, s27
	s_ashr_i32 s5, s17, 31
	s_wait_alu 0xfffe
	s_ashr_i32 s1, s0, 31
	v_xor_b32_e32 v2, s5, v2
	v_add_nc_u32_e32 v10, 1, v3
	s_wait_alu 0xfffe
	s_lshl_b64 s[0:1], s[0:1], 1
	v_lshlrev_b32_e32 v6, 1, v1
	s_lshl_b64 s[44:45], s[44:45], 1
	v_subrev_nc_u32_e32 v8, s5, v2
	s_wait_alu 0xfffd
	v_cndmask_b32_e32 v3, v3, v10, vcc_lo
	s_wait_alu 0xfffe
	s_add_nc_u64 s[30:31], s[30:31], s[0:1]
	s_mul_i32 s0, s33, s42
	s_add_nc_u64 s[34:35], s[34:35], s[44:45]
	v_mul_lo_u32 v2, v8, s17
	v_xor_b32_e32 v3, s23, v3
	s_sub_co_i32 s5, s43, s22
	s_wait_alu 0xfffe
	s_sub_co_i32 s20, s0, s21
	s_delay_alu instid0(VALU_DEP_1) | instskip(NEXT) | instid1(VALU_DEP_3)
	v_subrev_nc_u32_e32 v9, s23, v3
	v_sub_nc_u32_e32 v10, v4, v2
	s_delay_alu instid0(VALU_DEP_2) | instskip(SKIP_1) | instid1(VALU_DEP_2)
	v_mul_lo_u32 v3, v9, s19
	v_cmp_gt_i32_e32 vcc_lo, s18, v9
	v_sub_nc_u32_e32 v11, v1, v3
	s_branch .LBB42_6
.LBB42_3:                               ;   in Loop: Header=BB42_6 Depth=1
	s_or_b32 exec_lo, exec_lo, s23
.LBB42_4:                               ;   in Loop: Header=BB42_6 Depth=1
	s_wait_alu 0xfffe
	s_or_b32 exec_lo, exec_lo, s22
.LBB42_5:                               ;   in Loop: Header=BB42_6 Depth=1
	s_wait_alu 0xfffe
	s_or_b32 exec_lo, exec_lo, s21
	v_add_nc_u32_e32 v4, s3, v4
	v_add_nc_u32_e32 v10, s3, v10
	s_delay_alu instid0(VALU_DEP_2) | instskip(SKIP_1) | instid1(SALU_CYCLE_1)
	v_cmp_le_i32_e64 s0, s38, v4
	s_or_b32 s40, s0, s40
	s_and_not1_b32 exec_lo, exec_lo, s40
	s_cbranch_execz .LBB42_22
.LBB42_6:                               ; =>This Loop Header: Depth=1
                                        ;     Child Loop BB42_8 Depth 2
                                        ;     Child Loop BB42_14 Depth 2
                                        ;       Child Loop BB42_20 Depth 3
	s_mov_b32 s1, exec_lo
	v_cmpx_le_i32_e64 s17, v10
	s_cbranch_execz .LBB42_10
; %bb.7:                                ;   in Loop: Header=BB42_6 Depth=1
	s_mov_b32 s2, 0
.LBB42_8:                               ;   Parent Loop BB42_6 Depth=1
                                        ; =>  This Inner Loop Header: Depth=2
	v_subrev_nc_u32_e32 v10, s17, v10
	v_add_nc_u32_e32 v8, 1, v8
	s_delay_alu instid0(VALU_DEP_2)
	v_cmp_gt_i32_e64 s0, s17, v10
	s_wait_alu 0xfffe
	s_or_b32 s2, s0, s2
	s_wait_alu 0xfffe
	s_and_not1_b32 exec_lo, exec_lo, s2
	s_cbranch_execnz .LBB42_8
; %bb.9:                                ;   in Loop: Header=BB42_6 Depth=1
	s_or_b32 exec_lo, exec_lo, s2
.LBB42_10:                              ;   in Loop: Header=BB42_6 Depth=1
	s_wait_alu 0xfffe
	s_or_b32 exec_lo, exec_lo, s1
	v_mad_co_u64_u32 v[1:2], null, v10, s11, s[12:13]
	s_delay_alu instid0(VALU_DEP_1)
	v_cmp_lt_i32_e64 s0, -1, v1
	v_cmp_gt_i32_e64 s1, s13, v1
	s_and_b32 s0, s0, s1
	s_wait_alu 0xfffe
	s_and_saveexec_b32 s21, s0
	s_cbranch_execz .LBB42_5
; %bb.11:                               ;   in Loop: Header=BB42_6 Depth=1
	s_and_saveexec_b32 s22, vcc_lo
	s_cbranch_execz .LBB42_4
; %bb.12:                               ;   in Loop: Header=BB42_6 Depth=1
	v_mul_lo_u32 v2, s4, v8
	v_mul_lo_u32 v12, s24, v8
	;; [unrolled: 1-line block ×4, first 2 shown]
	s_mov_b32 s23, 0
	s_delay_alu instid0(VALU_DEP_4) | instskip(NEXT) | instid1(VALU_DEP_4)
	v_ashrrev_i32_e32 v3, 31, v2
	v_ashrrev_i32_e32 v13, 31, v12
	s_delay_alu instid0(VALU_DEP_4) | instskip(NEXT) | instid1(VALU_DEP_4)
	v_ashrrev_i32_e32 v17, 31, v16
	v_ashrrev_i32_e32 v15, 31, v14
	s_delay_alu instid0(VALU_DEP_4) | instskip(NEXT) | instid1(VALU_DEP_4)
	v_lshlrev_b64_e32 v[1:2], 1, v[2:3]
	v_lshlrev_b64_e32 v[12:13], 1, v[12:13]
	s_delay_alu instid0(VALU_DEP_4) | instskip(NEXT) | instid1(VALU_DEP_4)
	v_lshlrev_b64_e32 v[16:17], 1, v[16:17]
	v_lshlrev_b64_e32 v[14:15], 1, v[14:15]
	s_delay_alu instid0(VALU_DEP_4)
	v_add_co_u32 v1, s0, s30, v1
	s_wait_alu 0xf1ff
	v_add_co_ci_u32_e64 v2, null, s31, v2, s0
	v_add_co_u32 v3, s0, s34, v12
	s_wait_alu 0xf1ff
	v_add_co_ci_u32_e64 v13, null, s35, v13, s0
	v_add_co_u32 v1, s0, v1, v16
	s_wait_alu 0xf1ff
	v_add_co_ci_u32_e64 v2, null, v2, v17, s0
	v_add_co_u32 v12, s0, v3, v14
	s_wait_alu 0xf1ff
	v_add_co_ci_u32_e64 v13, null, v13, v15, s0
	v_add_co_u32 v1, s0, v1, v6
	s_wait_alu 0xf1ff
	v_add_co_ci_u32_e64 v2, null, 0, v2, s0
	v_dual_mov_b32 v14, v11 :: v_dual_mov_b32 v15, v9
	s_branch .LBB42_14
.LBB42_13:                              ;   in Loop: Header=BB42_14 Depth=2
	s_wait_alu 0xfffe
	s_or_b32 exec_lo, exec_lo, s1
	s_wait_loadcnt 0x0
	v_lshlrev_b32_e32 v3, 16, v16
	v_cmp_le_i32_e64 s0, s18, v15
	v_add_co_u32 v1, s1, v1, 64
	s_wait_alu 0xf1ff
	v_add_co_ci_u32_e64 v2, null, 0, v2, s1
	v_fmac_f32_e32 v7, v17, v3
	s_or_b32 s23, s0, s23
	s_wait_alu 0xfffe
	s_and_not1_b32 exec_lo, exec_lo, s23
	s_cbranch_execz .LBB42_3
.LBB42_14:                              ;   Parent Loop BB42_6 Depth=1
                                        ; =>  This Loop Header: Depth=2
                                        ;       Child Loop BB42_20 Depth 3
	global_load_u16 v16, v[1:2], off
	v_lshl_add_u32 v3, v14, 1, s5
	v_mov_b32_e32 v17, 0
	s_mov_b32 s25, exec_lo
	s_delay_alu instid0(VALU_DEP_2)
	v_cmpx_lt_i32_e32 -1, v3
	s_cbranch_execz .LBB42_18
; %bb.15:                               ;   in Loop: Header=BB42_14 Depth=2
	v_lshl_add_u32 v18, v15, 1, s20
	v_cmp_gt_i32_e64 s0, s15, v3
	v_mov_b32_e32 v17, 0
	s_delay_alu instid0(VALU_DEP_3)
	v_cmp_gt_i32_e64 s1, s14, v18
	v_cmp_lt_i32_e64 s2, -1, v18
	s_and_b32 s0, s0, s1
	s_wait_alu 0xfffe
	s_and_b32 s0, s0, s2
	s_wait_alu 0xfffe
	s_and_saveexec_b32 s1, s0
	s_cbranch_execz .LBB42_17
; %bb.16:                               ;   in Loop: Header=BB42_14 Depth=2
	v_mad_co_u64_u32 v[17:18], null, v18, s15, v[3:4]
	v_mov_b32_e32 v18, v5
	s_delay_alu instid0(VALU_DEP_1) | instskip(NEXT) | instid1(VALU_DEP_1)
	v_lshlrev_b64_e32 v[17:18], 1, v[17:18]
	v_add_co_u32 v17, s0, v12, v17
	s_wait_alu 0xf1ff
	s_delay_alu instid0(VALU_DEP_2)
	v_add_co_ci_u32_e64 v18, null, v13, v18, s0
	global_load_u16 v3, v[17:18], off
	s_wait_loadcnt 0x0
	v_lshlrev_b32_e32 v17, 16, v3
.LBB42_17:                              ;   in Loop: Header=BB42_14 Depth=2
	s_wait_alu 0xfffe
	s_or_b32 exec_lo, exec_lo, s1
.LBB42_18:                              ;   in Loop: Header=BB42_14 Depth=2
	s_wait_alu 0xfffe
	s_or_b32 exec_lo, exec_lo, s25
	v_add_nc_u32_e32 v14, 32, v14
	s_mov_b32 s1, exec_lo
	s_delay_alu instid0(VALU_DEP_1)
	v_cmpx_le_i32_e64 s19, v14
	s_cbranch_execz .LBB42_13
; %bb.19:                               ;   in Loop: Header=BB42_14 Depth=2
	s_mov_b32 s2, 0
.LBB42_20:                              ;   Parent Loop BB42_6 Depth=1
                                        ;     Parent Loop BB42_14 Depth=2
                                        ; =>    This Inner Loop Header: Depth=3
	v_subrev_nc_u32_e32 v14, s19, v14
	v_add_nc_u32_e32 v15, 1, v15
	s_delay_alu instid0(VALU_DEP_2)
	v_cmp_gt_i32_e64 s0, s19, v14
	s_wait_alu 0xfffe
	s_or_b32 s2, s0, s2
	s_wait_alu 0xfffe
	s_and_not1_b32 exec_lo, exec_lo, s2
	s_cbranch_execnz .LBB42_20
; %bb.21:                               ;   in Loop: Header=BB42_14 Depth=2
	s_or_b32 exec_lo, exec_lo, s2
	s_branch .LBB42_13
.LBB42_22:
	s_or_b32 exec_lo, exec_lo, s40
.LBB42_23:
	s_delay_alu instid0(SALU_CYCLE_1)
	s_or_b32 exec_lo, exec_lo, s39
	s_load_b64 s[0:1], s[28:29], 0x0
	v_bfe_u32 v1, v7, 16, 1
	v_cmp_o_f32_e32 vcc_lo, v7, v7
	s_bcnt1_i32_b32 s3, s37
	s_mov_b32 s2, -1
	s_wait_alu 0xfffe
	s_cmp_lg_u32 s3, 1
	v_add3_u32 v1, v7, v1, 0x7fff
	s_delay_alu instid0(VALU_DEP_1) | instskip(SKIP_2) | instid1(VALU_DEP_2)
	v_lshrrev_b32_e32 v2, 16, v1
	v_lshl_add_u32 v1, v0, 1, 0
	s_wait_alu 0xfffd
	v_cndmask_b32_e32 v2, 0x7fc0, v2, vcc_lo
	ds_store_b16 v1, v2
	s_wait_dscnt 0x0
	s_barrier_signal -1
	s_barrier_wait -1
	global_inv scope:SCOPE_SE
	s_cbranch_scc1 .LBB42_32
; %bb.24:
	s_and_not1_b32 vcc_lo, exec_lo, s2
	s_wait_alu 0xfffe
	s_cbranch_vccnz .LBB42_28
.LBB42_25:
	s_cmp_lt_u32 s37, 2
	s_cbranch_scc0 .LBB42_30
.LBB42_26:
	s_mov_b32 s2, exec_lo
	v_cmpx_eq_u32_e32 0, v0
	s_cbranch_execz .LBB42_28
; %bb.27:
	v_mov_b32_e32 v0, 0
	s_mul_i32 s2, s7, s27
	s_mul_i32 s4, s8, s36
	s_wait_alu 0xfffe
	s_ashr_i32 s3, s2, 31
	s_ashr_i32 s5, s4, 31
	ds_load_u16 v1, v0
	s_wait_alu 0xfffe
	s_lshl_b64 s[2:3], s[2:3], 1
	s_wait_kmcnt 0x0
	s_wait_alu 0xfffe
	s_add_nc_u64 s[0:1], s[0:1], s[2:3]
	s_lshl_b64 s[2:3], s[4:5], 1
	s_mul_i32 s4, s9, s33
	s_wait_alu 0xfffe
	s_add_nc_u64 s[0:1], s[0:1], s[2:3]
	s_ashr_i32 s5, s4, 31
	s_mul_i32 s2, s10, s16
	s_wait_alu 0xfffe
	s_lshl_b64 s[4:5], s[4:5], 1
	s_ashr_i32 s3, s2, 31
	s_wait_alu 0xfffe
	s_add_nc_u64 s[0:1], s[0:1], s[4:5]
	s_lshl_b64 s[2:3], s[2:3], 1
	s_wait_alu 0xfffe
	s_add_nc_u64 s[0:1], s[0:1], s[2:3]
	s_wait_dscnt 0x0
	global_store_b16 v0, v1, s[0:1]
.LBB42_28:
	s_endpgm
.LBB42_29:                              ;   in Loop: Header=BB42_30 Depth=1
	s_or_b32 exec_lo, exec_lo, s3
	s_cmp_lt_u32 s37, 4
	s_mov_b32 s37, s2
	s_wait_loadcnt_dscnt 0x0
	s_barrier_signal -1
	s_barrier_wait -1
	global_inv scope:SCOPE_SE
	s_cbranch_scc1 .LBB42_26
.LBB42_30:                              ; =>This Inner Loop Header: Depth=1
	s_lshr_b32 s2, s37, 1
	s_mov_b32 s3, exec_lo
	s_wait_alu 0xfffe
	v_cmpx_gt_u32_e64 s2, v0
	s_cbranch_execz .LBB42_29
; %bb.31:                               ;   in Loop: Header=BB42_30 Depth=1
	v_lshl_add_u32 v2, s2, 1, v1
	ds_load_u16 v2, v2
	ds_load_u16 v3, v1
	s_wait_dscnt 0x1
	v_lshlrev_b32_e32 v2, 16, v2
	s_wait_dscnt 0x0
	v_lshlrev_b32_e32 v3, 16, v3
	s_delay_alu instid0(VALU_DEP_1) | instskip(NEXT) | instid1(VALU_DEP_1)
	v_add_f32_e32 v2, v2, v3
	v_bfe_u32 v3, v2, 16, 1
	v_cmp_o_f32_e32 vcc_lo, v2, v2
	s_delay_alu instid0(VALU_DEP_2) | instskip(NEXT) | instid1(VALU_DEP_1)
	v_add3_u32 v3, v2, v3, 0x7fff
	v_lshrrev_b32_e32 v3, 16, v3
	s_wait_alu 0xfffd
	s_delay_alu instid0(VALU_DEP_1)
	v_cndmask_b32_e32 v2, 0x7fc0, v3, vcc_lo
	ds_store_b16 v1, v2
	s_branch .LBB42_29
.LBB42_32:
	s_trap 2
	; divergent unreachable
	s_cbranch_execz .LBB42_25
	s_branch .LBB42_28
	.section	.rodata,"a",@progbits
	.p2align	6, 0x0
	.amdhsa_kernel _ZN2at6native12_GLOBAL__N_144conv_depthwise3d_cuda_backward_weight_kernelIN3c108BFloat16EfLi2ELi2EEEvN5torch10headeronly6detail27GenericPackedTensorAccessorINS7_14TensorAccessorINS3_8ArrayRefIlEEKT_Lm4ENS6_16DefaultPtrTraitsEiEENS_6detail16IndexBoundsCheckILm5EiEESD_Lm5ESE_iEESJ_NS8_INS9_ISB_SC_Lm4ESE_iEESI_SC_Lm5ESE_iEEiiiiiiiii
		.amdhsa_group_segment_fixed_size 0
		.amdhsa_private_segment_fixed_size 0
		.amdhsa_kernarg_size 440
		.amdhsa_user_sgpr_count 2
		.amdhsa_user_sgpr_dispatch_ptr 0
		.amdhsa_user_sgpr_queue_ptr 0
		.amdhsa_user_sgpr_kernarg_segment_ptr 1
		.amdhsa_user_sgpr_dispatch_id 0
		.amdhsa_user_sgpr_private_segment_size 0
		.amdhsa_wavefront_size32 1
		.amdhsa_uses_dynamic_stack 0
		.amdhsa_enable_private_segment 0
		.amdhsa_system_sgpr_workgroup_id_x 1
		.amdhsa_system_sgpr_workgroup_id_y 0
		.amdhsa_system_sgpr_workgroup_id_z 0
		.amdhsa_system_sgpr_workgroup_info 0
		.amdhsa_system_vgpr_workitem_id 0
		.amdhsa_next_free_vgpr 19
		.amdhsa_next_free_sgpr 46
		.amdhsa_reserve_vcc 1
		.amdhsa_float_round_mode_32 0
		.amdhsa_float_round_mode_16_64 0
		.amdhsa_float_denorm_mode_32 3
		.amdhsa_float_denorm_mode_16_64 3
		.amdhsa_fp16_overflow 0
		.amdhsa_workgroup_processor_mode 1
		.amdhsa_memory_ordered 1
		.amdhsa_forward_progress 1
		.amdhsa_inst_pref_size 20
		.amdhsa_round_robin_scheduling 0
		.amdhsa_exception_fp_ieee_invalid_op 0
		.amdhsa_exception_fp_denorm_src 0
		.amdhsa_exception_fp_ieee_div_zero 0
		.amdhsa_exception_fp_ieee_overflow 0
		.amdhsa_exception_fp_ieee_underflow 0
		.amdhsa_exception_fp_ieee_inexact 0
		.amdhsa_exception_int_div_zero 0
	.end_amdhsa_kernel
	.section	.text._ZN2at6native12_GLOBAL__N_144conv_depthwise3d_cuda_backward_weight_kernelIN3c108BFloat16EfLi2ELi2EEEvN5torch10headeronly6detail27GenericPackedTensorAccessorINS7_14TensorAccessorINS3_8ArrayRefIlEEKT_Lm4ENS6_16DefaultPtrTraitsEiEENS_6detail16IndexBoundsCheckILm5EiEESD_Lm5ESE_iEESJ_NS8_INS9_ISB_SC_Lm4ESE_iEESI_SC_Lm5ESE_iEEiiiiiiiii,"axG",@progbits,_ZN2at6native12_GLOBAL__N_144conv_depthwise3d_cuda_backward_weight_kernelIN3c108BFloat16EfLi2ELi2EEEvN5torch10headeronly6detail27GenericPackedTensorAccessorINS7_14TensorAccessorINS3_8ArrayRefIlEEKT_Lm4ENS6_16DefaultPtrTraitsEiEENS_6detail16IndexBoundsCheckILm5EiEESD_Lm5ESE_iEESJ_NS8_INS9_ISB_SC_Lm4ESE_iEESI_SC_Lm5ESE_iEEiiiiiiiii,comdat
.Lfunc_end42:
	.size	_ZN2at6native12_GLOBAL__N_144conv_depthwise3d_cuda_backward_weight_kernelIN3c108BFloat16EfLi2ELi2EEEvN5torch10headeronly6detail27GenericPackedTensorAccessorINS7_14TensorAccessorINS3_8ArrayRefIlEEKT_Lm4ENS6_16DefaultPtrTraitsEiEENS_6detail16IndexBoundsCheckILm5EiEESD_Lm5ESE_iEESJ_NS8_INS9_ISB_SC_Lm4ESE_iEESI_SC_Lm5ESE_iEEiiiiiiiii, .Lfunc_end42-_ZN2at6native12_GLOBAL__N_144conv_depthwise3d_cuda_backward_weight_kernelIN3c108BFloat16EfLi2ELi2EEEvN5torch10headeronly6detail27GenericPackedTensorAccessorINS7_14TensorAccessorINS3_8ArrayRefIlEEKT_Lm4ENS6_16DefaultPtrTraitsEiEENS_6detail16IndexBoundsCheckILm5EiEESD_Lm5ESE_iEESJ_NS8_INS9_ISB_SC_Lm4ESE_iEESI_SC_Lm5ESE_iEEiiiiiiiii
                                        ; -- End function
	.set _ZN2at6native12_GLOBAL__N_144conv_depthwise3d_cuda_backward_weight_kernelIN3c108BFloat16EfLi2ELi2EEEvN5torch10headeronly6detail27GenericPackedTensorAccessorINS7_14TensorAccessorINS3_8ArrayRefIlEEKT_Lm4ENS6_16DefaultPtrTraitsEiEENS_6detail16IndexBoundsCheckILm5EiEESD_Lm5ESE_iEESJ_NS8_INS9_ISB_SC_Lm4ESE_iEESI_SC_Lm5ESE_iEEiiiiiiiii.num_vgpr, 19
	.set _ZN2at6native12_GLOBAL__N_144conv_depthwise3d_cuda_backward_weight_kernelIN3c108BFloat16EfLi2ELi2EEEvN5torch10headeronly6detail27GenericPackedTensorAccessorINS7_14TensorAccessorINS3_8ArrayRefIlEEKT_Lm4ENS6_16DefaultPtrTraitsEiEENS_6detail16IndexBoundsCheckILm5EiEESD_Lm5ESE_iEESJ_NS8_INS9_ISB_SC_Lm4ESE_iEESI_SC_Lm5ESE_iEEiiiiiiiii.num_agpr, 0
	.set _ZN2at6native12_GLOBAL__N_144conv_depthwise3d_cuda_backward_weight_kernelIN3c108BFloat16EfLi2ELi2EEEvN5torch10headeronly6detail27GenericPackedTensorAccessorINS7_14TensorAccessorINS3_8ArrayRefIlEEKT_Lm4ENS6_16DefaultPtrTraitsEiEENS_6detail16IndexBoundsCheckILm5EiEESD_Lm5ESE_iEESJ_NS8_INS9_ISB_SC_Lm4ESE_iEESI_SC_Lm5ESE_iEEiiiiiiiii.numbered_sgpr, 46
	.set _ZN2at6native12_GLOBAL__N_144conv_depthwise3d_cuda_backward_weight_kernelIN3c108BFloat16EfLi2ELi2EEEvN5torch10headeronly6detail27GenericPackedTensorAccessorINS7_14TensorAccessorINS3_8ArrayRefIlEEKT_Lm4ENS6_16DefaultPtrTraitsEiEENS_6detail16IndexBoundsCheckILm5EiEESD_Lm5ESE_iEESJ_NS8_INS9_ISB_SC_Lm4ESE_iEESI_SC_Lm5ESE_iEEiiiiiiiii.num_named_barrier, 0
	.set _ZN2at6native12_GLOBAL__N_144conv_depthwise3d_cuda_backward_weight_kernelIN3c108BFloat16EfLi2ELi2EEEvN5torch10headeronly6detail27GenericPackedTensorAccessorINS7_14TensorAccessorINS3_8ArrayRefIlEEKT_Lm4ENS6_16DefaultPtrTraitsEiEENS_6detail16IndexBoundsCheckILm5EiEESD_Lm5ESE_iEESJ_NS8_INS9_ISB_SC_Lm4ESE_iEESI_SC_Lm5ESE_iEEiiiiiiiii.private_seg_size, 0
	.set _ZN2at6native12_GLOBAL__N_144conv_depthwise3d_cuda_backward_weight_kernelIN3c108BFloat16EfLi2ELi2EEEvN5torch10headeronly6detail27GenericPackedTensorAccessorINS7_14TensorAccessorINS3_8ArrayRefIlEEKT_Lm4ENS6_16DefaultPtrTraitsEiEENS_6detail16IndexBoundsCheckILm5EiEESD_Lm5ESE_iEESJ_NS8_INS9_ISB_SC_Lm4ESE_iEESI_SC_Lm5ESE_iEEiiiiiiiii.uses_vcc, 1
	.set _ZN2at6native12_GLOBAL__N_144conv_depthwise3d_cuda_backward_weight_kernelIN3c108BFloat16EfLi2ELi2EEEvN5torch10headeronly6detail27GenericPackedTensorAccessorINS7_14TensorAccessorINS3_8ArrayRefIlEEKT_Lm4ENS6_16DefaultPtrTraitsEiEENS_6detail16IndexBoundsCheckILm5EiEESD_Lm5ESE_iEESJ_NS8_INS9_ISB_SC_Lm4ESE_iEESI_SC_Lm5ESE_iEEiiiiiiiii.uses_flat_scratch, 0
	.set _ZN2at6native12_GLOBAL__N_144conv_depthwise3d_cuda_backward_weight_kernelIN3c108BFloat16EfLi2ELi2EEEvN5torch10headeronly6detail27GenericPackedTensorAccessorINS7_14TensorAccessorINS3_8ArrayRefIlEEKT_Lm4ENS6_16DefaultPtrTraitsEiEENS_6detail16IndexBoundsCheckILm5EiEESD_Lm5ESE_iEESJ_NS8_INS9_ISB_SC_Lm4ESE_iEESI_SC_Lm5ESE_iEEiiiiiiiii.has_dyn_sized_stack, 0
	.set _ZN2at6native12_GLOBAL__N_144conv_depthwise3d_cuda_backward_weight_kernelIN3c108BFloat16EfLi2ELi2EEEvN5torch10headeronly6detail27GenericPackedTensorAccessorINS7_14TensorAccessorINS3_8ArrayRefIlEEKT_Lm4ENS6_16DefaultPtrTraitsEiEENS_6detail16IndexBoundsCheckILm5EiEESD_Lm5ESE_iEESJ_NS8_INS9_ISB_SC_Lm4ESE_iEESI_SC_Lm5ESE_iEEiiiiiiiii.has_recursion, 0
	.set _ZN2at6native12_GLOBAL__N_144conv_depthwise3d_cuda_backward_weight_kernelIN3c108BFloat16EfLi2ELi2EEEvN5torch10headeronly6detail27GenericPackedTensorAccessorINS7_14TensorAccessorINS3_8ArrayRefIlEEKT_Lm4ENS6_16DefaultPtrTraitsEiEENS_6detail16IndexBoundsCheckILm5EiEESD_Lm5ESE_iEESJ_NS8_INS9_ISB_SC_Lm4ESE_iEESI_SC_Lm5ESE_iEEiiiiiiiii.has_indirect_call, 0
	.section	.AMDGPU.csdata,"",@progbits
; Kernel info:
; codeLenInByte = 2456
; TotalNumSgprs: 48
; NumVgprs: 19
; ScratchSize: 0
; MemoryBound: 0
; FloatMode: 240
; IeeeMode: 1
; LDSByteSize: 0 bytes/workgroup (compile time only)
; SGPRBlocks: 0
; VGPRBlocks: 2
; NumSGPRsForWavesPerEU: 48
; NumVGPRsForWavesPerEU: 19
; Occupancy: 16
; WaveLimiterHint : 1
; COMPUTE_PGM_RSRC2:SCRATCH_EN: 0
; COMPUTE_PGM_RSRC2:USER_SGPR: 2
; COMPUTE_PGM_RSRC2:TRAP_HANDLER: 0
; COMPUTE_PGM_RSRC2:TGID_X_EN: 1
; COMPUTE_PGM_RSRC2:TGID_Y_EN: 0
; COMPUTE_PGM_RSRC2:TGID_Z_EN: 0
; COMPUTE_PGM_RSRC2:TIDIG_COMP_CNT: 0
	.section	.text._ZN2at6native12_GLOBAL__N_144conv_depthwise3d_cuda_backward_weight_kernelIN3c108BFloat16EfLin1ELin1EEEvN5torch10headeronly6detail27GenericPackedTensorAccessorINS7_14TensorAccessorINS3_8ArrayRefIlEEKT_Lm4ENS6_16DefaultPtrTraitsEiEENS_6detail16IndexBoundsCheckILm5EiEESD_Lm5ESE_iEESJ_NS8_INS9_ISB_SC_Lm4ESE_iEESI_SC_Lm5ESE_iEEiiiiiiiii,"axG",@progbits,_ZN2at6native12_GLOBAL__N_144conv_depthwise3d_cuda_backward_weight_kernelIN3c108BFloat16EfLin1ELin1EEEvN5torch10headeronly6detail27GenericPackedTensorAccessorINS7_14TensorAccessorINS3_8ArrayRefIlEEKT_Lm4ENS6_16DefaultPtrTraitsEiEENS_6detail16IndexBoundsCheckILm5EiEESD_Lm5ESE_iEESJ_NS8_INS9_ISB_SC_Lm4ESE_iEESI_SC_Lm5ESE_iEEiiiiiiiii,comdat
	.globl	_ZN2at6native12_GLOBAL__N_144conv_depthwise3d_cuda_backward_weight_kernelIN3c108BFloat16EfLin1ELin1EEEvN5torch10headeronly6detail27GenericPackedTensorAccessorINS7_14TensorAccessorINS3_8ArrayRefIlEEKT_Lm4ENS6_16DefaultPtrTraitsEiEENS_6detail16IndexBoundsCheckILm5EiEESD_Lm5ESE_iEESJ_NS8_INS9_ISB_SC_Lm4ESE_iEESI_SC_Lm5ESE_iEEiiiiiiiii ; -- Begin function _ZN2at6native12_GLOBAL__N_144conv_depthwise3d_cuda_backward_weight_kernelIN3c108BFloat16EfLin1ELin1EEEvN5torch10headeronly6detail27GenericPackedTensorAccessorINS7_14TensorAccessorINS3_8ArrayRefIlEEKT_Lm4ENS6_16DefaultPtrTraitsEiEENS_6detail16IndexBoundsCheckILm5EiEESD_Lm5ESE_iEESJ_NS8_INS9_ISB_SC_Lm4ESE_iEESI_SC_Lm5ESE_iEEiiiiiiiii
	.p2align	8
	.type	_ZN2at6native12_GLOBAL__N_144conv_depthwise3d_cuda_backward_weight_kernelIN3c108BFloat16EfLin1ELin1EEEvN5torch10headeronly6detail27GenericPackedTensorAccessorINS7_14TensorAccessorINS3_8ArrayRefIlEEKT_Lm4ENS6_16DefaultPtrTraitsEiEENS_6detail16IndexBoundsCheckILm5EiEESD_Lm5ESE_iEESJ_NS8_INS9_ISB_SC_Lm4ESE_iEESI_SC_Lm5ESE_iEEiiiiiiiii,@function
_ZN2at6native12_GLOBAL__N_144conv_depthwise3d_cuda_backward_weight_kernelIN3c108BFloat16EfLin1ELin1EEEvN5torch10headeronly6detail27GenericPackedTensorAccessorINS7_14TensorAccessorINS3_8ArrayRefIlEEKT_Lm4ENS6_16DefaultPtrTraitsEiEENS_6detail16IndexBoundsCheckILm5EiEESD_Lm5ESE_iEESJ_NS8_INS9_ISB_SC_Lm4ESE_iEESI_SC_Lm5ESE_iEEiiiiiiiii: ; @_ZN2at6native12_GLOBAL__N_144conv_depthwise3d_cuda_backward_weight_kernelIN3c108BFloat16EfLin1ELin1EEEvN5torch10headeronly6detail27GenericPackedTensorAccessorINS7_14TensorAccessorINS3_8ArrayRefIlEEKT_Lm4ENS6_16DefaultPtrTraitsEiEENS_6detail16IndexBoundsCheckILm5EiEESD_Lm5ESE_iEESJ_NS8_INS9_ISB_SC_Lm4ESE_iEESI_SC_Lm5ESE_iEEiiiiiiiii
; %bb.0:
	s_clause 0x2
	s_load_b128 s[12:15], s[0:1], 0x70
	s_load_b128 s[16:19], s[0:1], 0x3c
	;; [unrolled: 1-line block ×3, first 2 shown]
	s_wait_kmcnt 0x0
	s_cvt_f32_u32 s2, s14
	s_cvt_f32_u32 s3, s13
	s_sub_co_i32 s4, 0, s14
	s_delay_alu instid0(SALU_CYCLE_1) | instskip(NEXT) | instid1(TRANS32_DEP_1)
	v_rcp_iflag_f32_e32 v1, s2
	v_readfirstlane_b32 s2, v1
	v_rcp_iflag_f32_e32 v1, s3
	s_mul_f32 s2, s2, 0x4f7ffffe
	s_wait_alu 0xfffe
	s_delay_alu instid0(SALU_CYCLE_2) | instskip(NEXT) | instid1(TRANS32_DEP_1)
	s_cvt_u32_f32 s2, s2
	v_readfirstlane_b32 s5, v1
	s_wait_alu 0xfffe
	s_delay_alu instid0(SALU_CYCLE_1) | instskip(NEXT) | instid1(SALU_CYCLE_1)
	s_mul_i32 s4, s4, s2
	s_mul_hi_u32 s3, s2, s4
	s_mul_f32 s5, s5, 0x4f7ffffe
	s_wait_alu 0xfffe
	s_add_co_i32 s2, s2, s3
	s_cvt_f32_u32 s3, s12
	s_wait_alu 0xfffe
	s_mul_hi_u32 s2, ttmp9, s2
	s_wait_alu 0xfffe
	s_mul_i32 s4, s2, s14
	s_add_co_i32 s6, s2, 1
	s_sub_co_i32 s4, ttmp9, s4
	v_rcp_iflag_f32_e32 v1, s3
	s_sub_co_i32 s7, s4, s14
	s_cmp_ge_u32 s4, s14
	s_cselect_b32 s2, s6, s2
	s_cselect_b32 s4, s7, s4
	s_wait_alu 0xfffe
	s_add_co_i32 s6, s2, 1
	s_cmp_ge_u32 s4, s14
	s_cvt_u32_f32 s4, s5
	s_cselect_b32 s2, s6, s2
	s_sub_co_i32 s5, 0, s13
	s_delay_alu instid0(SALU_CYCLE_1) | instskip(NEXT) | instid1(SALU_CYCLE_1)
	s_mul_i32 s5, s5, s4
	s_mul_hi_u32 s3, s4, s5
	v_readfirstlane_b32 s5, v1
	s_wait_alu 0xfffe
	s_add_co_i32 s4, s4, s3
	s_delay_alu instid0(SALU_CYCLE_1)
	s_mul_hi_u32 s3, s2, s4
	s_wait_alu 0xfffe
	s_mul_i32 s4, s3, s13
	s_add_co_i32 s6, s3, 1
	s_sub_co_i32 s4, s2, s4
	s_mul_f32 s5, s5, 0x4f7ffffe
	s_sub_co_i32 s7, s4, s13
	s_cmp_ge_u32 s4, s13
	s_cselect_b32 s3, s6, s3
	s_cselect_b32 s4, s7, s4
	s_wait_alu 0xfffe
	s_add_co_i32 s6, s3, 1
	s_cmp_ge_u32 s4, s13
	s_cvt_u32_f32 s4, s5
	s_cselect_b32 s28, s6, s3
	s_sub_co_i32 s3, 0, s12
	s_wait_alu 0xfffe
	s_mul_i32 s3, s3, s4
	s_wait_alu 0xfffe
	s_mul_hi_u32 s3, s4, s3
	s_wait_alu 0xfffe
	s_add_co_i32 s4, s4, s3
	s_delay_alu instid0(SALU_CYCLE_1) | instskip(SKIP_4) | instid1(SALU_CYCLE_1)
	s_mul_hi_u32 s3, s28, s4
	s_wait_alu 0xfffe
	s_mul_i32 s4, s3, s12
	s_add_co_i32 s5, s3, 1
	s_sub_co_i32 s4, s28, s4
	s_sub_co_i32 s6, s4, s12
	s_cmp_ge_u32 s4, s12
	s_cselect_b32 s3, s5, s3
	s_cselect_b32 s4, s6, s4
	s_wait_alu 0xfffe
	s_add_co_i32 s5, s3, 1
	s_cmp_ge_u32 s4, s12
	s_cselect_b32 s31, s5, s3
	s_abs_i32 s3, s16
	s_abs_i32 s6, s20
	s_wait_alu 0xfffe
	s_cvt_f32_u32 s4, s3
	s_sub_co_i32 s5, 0, s3
	s_delay_alu instid0(SALU_CYCLE_2) | instskip(NEXT) | instid1(TRANS32_DEP_1)
	v_rcp_iflag_f32_e32 v1, s4
	v_readfirstlane_b32 s4, v1
	s_mul_f32 s4, s4, 0x4f7ffffe
	s_wait_alu 0xfffe
	s_delay_alu instid0(SALU_CYCLE_2) | instskip(SKIP_1) | instid1(SALU_CYCLE_2)
	s_cvt_u32_f32 s4, s4
	s_wait_alu 0xfffe
	s_mul_i32 s5, s5, s4
	s_wait_alu 0xfffe
	s_mul_hi_u32 s5, s4, s5
	s_wait_alu 0xfffe
	s_add_co_i32 s4, s4, s5
	s_xor_b32 s5, s20, s16
	s_wait_alu 0xfffe
	s_mul_hi_u32 s4, s6, s4
	s_ashr_i32 s5, s5, 31
	s_wait_alu 0xfffe
	s_mul_i32 s7, s4, s3
	s_delay_alu instid0(SALU_CYCLE_1)
	s_sub_co_i32 s6, s6, s7
	s_add_co_i32 s7, s4, 1
	s_sub_co_i32 s8, s6, s3
	s_cmp_ge_u32 s6, s3
	s_cselect_b32 s4, s7, s4
	s_cselect_b32 s6, s8, s6
	s_wait_alu 0xfffe
	s_add_co_i32 s7, s4, 1
	s_cmp_ge_u32 s6, s3
	s_cselect_b32 s3, s7, s4
	s_load_b32 s4, s[0:1], 0x68
	s_xor_b32 s3, s3, s5
	s_wait_alu 0xfffe
	s_sub_co_i32 s20, s3, s5
	s_delay_alu instid0(SALU_CYCLE_1) | instskip(NEXT) | instid1(SALU_CYCLE_1)
	s_abs_i32 s16, s20
	s_cvt_f32_u32 s3, s16
	s_wait_alu 0xfffe
	s_delay_alu instid0(SALU_CYCLE_2) | instskip(SKIP_3) | instid1(TRANS32_DEP_1)
	v_rcp_iflag_f32_e32 v1, s3
	s_mov_b32 s3, 0
	s_wait_kmcnt 0x0
	s_cmp_ge_i32 s31, s4
	v_readfirstlane_b32 s29, v1
	s_cbranch_scc1 .LBB43_28
; %bb.1:
	s_load_b32 s43, s[0:1], 0x38
	s_add_nc_u64 s[34:35], s[0:1], 0x60
	s_load_b32 s30, s[0:1], 0xc4
	s_clause 0x1
	s_load_b128 s[24:27], s[34:35], 0x44
	s_load_b256 s[4:11], s[34:35], 0x24
	v_lshrrev_b32_e32 v6, 5, v0
	v_mov_b32_e32 v8, 0
	s_mul_i32 s14, s2, s14
	s_mul_i32 s13, s28, s13
	;; [unrolled: 1-line block ×3, first 2 shown]
	s_sub_co_i32 s33, ttmp9, s14
	s_sub_co_i32 s40, s2, s13
	s_sub_co_i32 s41, s28, s12
	s_mov_b32 s44, exec_lo
	s_wait_kmcnt 0x0
	s_and_b32 s42, s30, 0xffff
	s_mul_i32 s43, s43, s21
	s_delay_alu instid0(SALU_CYCLE_1)
	v_cmpx_gt_i32_e64 s43, v6
	s_cbranch_execz .LBB43_23
; %bb.2:
	s_mul_f32 s2, s29, 0x4f7ffffe
	s_mul_i32 s25, s41, s25
	s_mov_b32 s45, 0
	v_mov_b32_e32 v7, 0
	s_wait_alu 0xfffe
	s_cvt_u32_f32 s12, s2
	s_sub_co_i32 s2, 0, s16
	s_wait_alu 0xfffe
	s_delay_alu instid0(SALU_CYCLE_1)
	s_mul_i32 s13, s2, s12
	s_abs_i32 s2, s31
	s_mul_hi_u32 s14, s12, s13
	s_mov_b32 s13, s3
	s_add_co_i32 s12, s12, s14
	s_ashr_i32 s14, s20, 31
	s_wait_alu 0xfffe
	s_mul_u64 s[12:13], s[2:3], s[12:13]
	s_ashr_i32 s12, s31, 31
	s_mul_i32 s20, s13, s16
	s_lshr_b32 s3, s42, 5
	s_sub_co_i32 s2, s2, s20
	s_xor_b32 s46, s12, s14
	s_add_co_i32 s12, s13, 1
	s_wait_alu 0xfffe
	s_sub_co_i32 s14, s2, s16
	s_cmp_ge_u32 s2, s16
	s_cselect_b32 s12, s12, s13
	s_cselect_b32 s2, s14, s2
	s_add_co_i32 s13, s12, 1
	s_wait_alu 0xfffe
	s_cmp_ge_u32 s2, s16
	s_cselect_b32 s16, s13, s12
	s_abs_i32 s20, s21
	s_abs_i32 s47, s23
	s_cvt_f32_u32 s2, s20
	s_cvt_f32_u32 s12, s47
	s_sub_co_i32 s13, 0, s20
	s_sub_co_i32 s14, 0, s47
	s_wait_alu 0xfffe
	v_rcp_iflag_f32_e32 v1, s2
	v_rcp_iflag_f32_e32 v2, s12
	s_sub_co_i32 s10, s25, s10
	s_delay_alu instid0(TRANS32_DEP_2) | instskip(NEXT) | instid1(TRANS32_DEP_1)
	v_readfirstlane_b32 s2, v1
	v_readfirstlane_b32 s12, v2
	v_and_b32_e32 v1, 31, v0
	s_mul_f32 s2, s2, 0x4f7ffffe
	s_mul_f32 s12, s12, 0x4f7ffffe
	s_wait_alu 0xfffe
	s_delay_alu instid0(SALU_CYCLE_1) | instskip(NEXT) | instid1(SALU_CYCLE_1)
	s_cvt_u32_f32 s2, s2
	s_cvt_u32_f32 s12, s12
	s_wait_alu 0xfffe
	s_delay_alu instid0(SALU_CYCLE_1) | instskip(NEXT) | instid1(SALU_CYCLE_1)
	s_mul_i32 s13, s13, s2
	s_mul_i32 s14, s14, s12
	s_wait_alu 0xfffe
	s_mul_hi_u32 s13, s2, s13
	s_wait_alu 0xfffe
	s_add_co_i32 s2, s2, s13
	s_mul_hi_u32 s13, s12, s14
	s_wait_alu 0xfffe
	v_mul_hi_u32 v2, v6, s2
	s_add_co_i32 s12, s12, s13
	s_delay_alu instid0(VALU_DEP_1) | instskip(SKIP_1) | instid1(VALU_DEP_2)
	v_mul_lo_u32 v4, v2, s20
	v_add_nc_u32_e32 v8, 1, v2
	v_sub_nc_u32_e32 v4, v6, v4
	s_delay_alu instid0(VALU_DEP_1) | instskip(NEXT) | instid1(VALU_DEP_3)
	v_cmp_le_u32_e32 vcc_lo, s20, v4
	v_cndmask_b32_e32 v2, v2, v8, vcc_lo
	v_subrev_nc_u32_e32 v8, s20, v4
	s_delay_alu instid0(VALU_DEP_1) | instskip(NEXT) | instid1(VALU_DEP_3)
	v_cndmask_b32_e32 v4, v4, v8, vcc_lo
	v_add_nc_u32_e32 v8, 1, v2
	s_delay_alu instid0(VALU_DEP_2) | instskip(SKIP_2) | instid1(VALU_DEP_2)
	v_cmp_le_u32_e32 vcc_lo, s20, v4
	s_ashr_i32 s20, s23, 31
	s_wait_alu 0xfffd
	v_cndmask_b32_e32 v2, v2, v8, vcc_lo
	v_mov_b32_e32 v8, 0
	s_wait_alu 0xfffe
	v_mul_hi_u32 v3, v1, s12
	s_clause 0x3
	s_load_b64 s[36:37], s[0:1], 0x0
	s_load_b96 s[12:14], s[0:1], 0x1c
	s_load_b64 s[38:39], s[0:1], 0x30
	s_load_b96 s[28:30], s[0:1], 0x4c
	s_ashr_i32 s1, s21, 31
	s_delay_alu instid0(VALU_DEP_1) | instskip(SKIP_1) | instid1(VALU_DEP_2)
	v_mul_lo_u32 v5, v3, s47
	v_add_nc_u32_e32 v9, 1, v3
	v_sub_nc_u32_e32 v5, v1, v5
	s_delay_alu instid0(VALU_DEP_1)
	v_cmp_le_u32_e64 s2, s47, v5
	s_wait_kmcnt 0x0
	s_mul_i32 s0, s13, s31
	s_xor_b32 s13, s16, s46
	s_wait_alu 0xfffe
	s_sub_co_i32 s13, s13, s46
	v_cndmask_b32_e64 v3, v3, v9, s2
	v_subrev_nc_u32_e32 v9, s47, v5
	s_wait_alu 0xfffe
	s_mul_i32 s46, s29, s13
	s_delay_alu instid0(VALU_DEP_1)
	v_cndmask_b32_e64 v5, v5, v9, s2
	v_add_nc_u32_e32 v9, 1, v3
	s_mul_i32 s2, s33, s27
	s_wait_alu 0xfffe
	s_sub_co_i32 s16, s2, s24
	v_cmp_le_u32_e32 vcc_lo, s47, v5
	s_ashr_i32 s47, s46, 31
	s_wait_alu 0xfffe
	s_lshl_b64 s[46:47], s[46:47], 1
	s_wait_alu 0xfffd
	v_cndmask_b32_e32 v3, v3, v9, vcc_lo
	v_lshlrev_b32_e32 v9, 1, v1
	v_xor_b32_e32 v2, s1, v2
	s_wait_alu 0xfffe
	s_add_nc_u64 s[38:39], s[38:39], s[46:47]
	v_xor_b32_e32 v3, s20, v3
	s_delay_alu instid0(VALU_DEP_2) | instskip(SKIP_1) | instid1(VALU_DEP_2)
	v_subrev_nc_u32_e32 v10, s1, v2
	s_ashr_i32 s1, s0, 31
	v_subrev_nc_u32_e32 v11, s20, v3
	s_wait_alu 0xfffe
	s_lshl_b64 s[0:1], s[0:1], 1
	v_mul_lo_u32 v2, v10, s21
	s_wait_alu 0xfffe
	s_add_nc_u64 s[36:37], s[36:37], s[0:1]
	s_mul_i32 s0, s40, s26
	v_mul_lo_u32 v3, v11, s23
	s_wait_alu 0xfffe
	s_sub_co_i32 s20, s0, s11
	v_cmp_gt_i32_e32 vcc_lo, s22, v11
	v_sub_nc_u32_e32 v12, v6, v2
	s_delay_alu instid0(VALU_DEP_3)
	v_sub_nc_u32_e32 v13, v1, v3
	s_branch .LBB43_6
.LBB43_3:                               ;   in Loop: Header=BB43_6 Depth=1
	s_or_b32 exec_lo, exec_lo, s24
.LBB43_4:                               ;   in Loop: Header=BB43_6 Depth=1
	s_wait_alu 0xfffe
	s_or_b32 exec_lo, exec_lo, s13
.LBB43_5:                               ;   in Loop: Header=BB43_6 Depth=1
	s_wait_alu 0xfffe
	s_or_b32 exec_lo, exec_lo, s11
	v_add_nc_u32_e32 v6, s3, v6
	v_add_nc_u32_e32 v12, s3, v12
	s_delay_alu instid0(VALU_DEP_2) | instskip(SKIP_1) | instid1(SALU_CYCLE_1)
	v_cmp_le_i32_e64 s0, s43, v6
	s_or_b32 s45, s0, s45
	s_and_not1_b32 exec_lo, exec_lo, s45
	s_cbranch_execz .LBB43_22
.LBB43_6:                               ; =>This Loop Header: Depth=1
                                        ;     Child Loop BB43_8 Depth 2
                                        ;     Child Loop BB43_14 Depth 2
                                        ;       Child Loop BB43_20 Depth 3
	s_mov_b32 s1, exec_lo
	s_delay_alu instid0(VALU_DEP_2)
	v_cmpx_le_i32_e64 s21, v12
	s_cbranch_execz .LBB43_10
; %bb.7:                                ;   in Loop: Header=BB43_6 Depth=1
	s_mov_b32 s2, 0
.LBB43_8:                               ;   Parent Loop BB43_6 Depth=1
                                        ; =>  This Inner Loop Header: Depth=2
	v_subrev_nc_u32_e32 v12, s21, v12
	v_add_nc_u32_e32 v10, 1, v10
	s_delay_alu instid0(VALU_DEP_2)
	v_cmp_gt_i32_e64 s0, s21, v12
	s_wait_alu 0xfffe
	s_or_b32 s2, s0, s2
	s_wait_alu 0xfffe
	s_and_not1_b32 exec_lo, exec_lo, s2
	s_cbranch_execnz .LBB43_8
; %bb.9:                                ;   in Loop: Header=BB43_6 Depth=1
	s_or_b32 exec_lo, exec_lo, s2
.LBB43_10:                              ;   in Loop: Header=BB43_6 Depth=1
	s_wait_alu 0xfffe
	s_or_b32 exec_lo, exec_lo, s1
	v_mad_co_u64_u32 v[1:2], null, v12, s7, s[10:11]
	s_delay_alu instid0(VALU_DEP_1)
	v_cmp_lt_i32_e64 s0, -1, v1
	v_cmp_gt_i32_e64 s1, s17, v1
	s_and_b32 s0, s0, s1
	s_wait_alu 0xfffe
	s_and_saveexec_b32 s11, s0
	s_cbranch_execz .LBB43_5
; %bb.11:                               ;   in Loop: Header=BB43_6 Depth=1
	s_and_saveexec_b32 s13, vcc_lo
	s_cbranch_execz .LBB43_4
; %bb.12:                               ;   in Loop: Header=BB43_6 Depth=1
	v_mul_lo_u32 v2, s12, v10
	v_mul_lo_u32 v4, s28, v10
	;; [unrolled: 1-line block ×4, first 2 shown]
	s_mov_b32 s24, 0
	s_delay_alu instid0(VALU_DEP_4) | instskip(NEXT) | instid1(VALU_DEP_4)
	v_ashrrev_i32_e32 v3, 31, v2
	v_ashrrev_i32_e32 v5, 31, v4
	s_delay_alu instid0(VALU_DEP_4) | instskip(NEXT) | instid1(VALU_DEP_4)
	v_ashrrev_i32_e32 v17, 31, v16
	v_ashrrev_i32_e32 v15, 31, v14
	s_delay_alu instid0(VALU_DEP_4) | instskip(NEXT) | instid1(VALU_DEP_4)
	v_lshlrev_b64_e32 v[1:2], 1, v[2:3]
	v_lshlrev_b64_e32 v[3:4], 1, v[4:5]
	s_delay_alu instid0(VALU_DEP_4) | instskip(NEXT) | instid1(VALU_DEP_4)
	v_lshlrev_b64_e32 v[16:17], 1, v[16:17]
	v_lshlrev_b64_e32 v[14:15], 1, v[14:15]
	s_delay_alu instid0(VALU_DEP_4)
	v_add_co_u32 v1, s0, s36, v1
	s_wait_alu 0xf1ff
	v_add_co_ci_u32_e64 v2, null, s37, v2, s0
	v_add_co_u32 v3, s0, s38, v3
	s_wait_alu 0xf1ff
	v_add_co_ci_u32_e64 v4, null, s39, v4, s0
	v_add_co_u32 v1, s0, v1, v16
	s_wait_alu 0xf1ff
	v_add_co_ci_u32_e64 v2, null, v2, v17, s0
	v_add_co_u32 v14, s0, v3, v14
	s_wait_alu 0xf1ff
	v_add_co_ci_u32_e64 v15, null, v4, v15, s0
	v_add_co_u32 v1, s0, v1, v9
	s_wait_alu 0xf1ff
	v_add_co_ci_u32_e64 v2, null, 0, v2, s0
	v_dual_mov_b32 v16, v13 :: v_dual_mov_b32 v17, v11
	s_branch .LBB43_14
.LBB43_13:                              ;   in Loop: Header=BB43_14 Depth=2
	s_wait_alu 0xfffe
	s_or_b32 exec_lo, exec_lo, s1
	s_wait_loadcnt 0x0
	v_lshlrev_b32_e32 v3, 16, v18
	v_cmp_le_i32_e64 s0, s22, v17
	v_add_co_u32 v1, s1, v1, 64
	s_wait_alu 0xf1ff
	v_add_co_ci_u32_e64 v2, null, 0, v2, s1
	v_fmac_f32_e32 v8, v5, v3
	s_or_b32 s24, s0, s24
	s_delay_alu instid0(SALU_CYCLE_1)
	s_and_not1_b32 exec_lo, exec_lo, s24
	s_cbranch_execz .LBB43_3
.LBB43_14:                              ;   Parent Loop BB43_6 Depth=1
                                        ; =>  This Loop Header: Depth=2
                                        ;       Child Loop BB43_20 Depth 3
	global_load_u16 v18, v[1:2], off
	v_mad_co_u64_u32 v[3:4], null, v16, s9, s[16:17]
	v_mov_b32_e32 v5, 0
	s_mov_b32 s25, exec_lo
	s_delay_alu instid0(VALU_DEP_2)
	v_cmpx_lt_i32_e32 -1, v3
	s_cbranch_execz .LBB43_18
; %bb.15:                               ;   in Loop: Header=BB43_14 Depth=2
	v_mad_co_u64_u32 v[4:5], null, v17, s8, s[20:21]
	v_cmp_gt_i32_e64 s0, s19, v3
	v_mov_b32_e32 v5, 0
	s_delay_alu instid0(VALU_DEP_3)
	v_cmp_gt_i32_e64 s1, s18, v4
	v_cmp_lt_i32_e64 s2, -1, v4
	s_and_b32 s0, s0, s1
	s_wait_alu 0xfffe
	s_and_b32 s0, s0, s2
	s_wait_alu 0xfffe
	s_and_saveexec_b32 s1, s0
	s_cbranch_execz .LBB43_17
; %bb.16:                               ;   in Loop: Header=BB43_14 Depth=2
	v_mad_co_u64_u32 v[3:4], null, v4, s19, v[3:4]
	v_mov_b32_e32 v4, v7
	s_delay_alu instid0(VALU_DEP_1) | instskip(NEXT) | instid1(VALU_DEP_1)
	v_lshlrev_b64_e32 v[3:4], 1, v[3:4]
	v_add_co_u32 v3, s0, v14, v3
	s_wait_alu 0xf1ff
	s_delay_alu instid0(VALU_DEP_2)
	v_add_co_ci_u32_e64 v4, null, v15, v4, s0
	global_load_u16 v3, v[3:4], off
	s_wait_loadcnt 0x0
	v_lshlrev_b32_e32 v5, 16, v3
.LBB43_17:                              ;   in Loop: Header=BB43_14 Depth=2
	s_wait_alu 0xfffe
	s_or_b32 exec_lo, exec_lo, s1
.LBB43_18:                              ;   in Loop: Header=BB43_14 Depth=2
	s_delay_alu instid0(SALU_CYCLE_1) | instskip(SKIP_2) | instid1(VALU_DEP_1)
	s_or_b32 exec_lo, exec_lo, s25
	v_add_nc_u32_e32 v16, 32, v16
	s_mov_b32 s1, exec_lo
	v_cmpx_le_i32_e64 s23, v16
	s_cbranch_execz .LBB43_13
; %bb.19:                               ;   in Loop: Header=BB43_14 Depth=2
	s_mov_b32 s2, 0
.LBB43_20:                              ;   Parent Loop BB43_6 Depth=1
                                        ;     Parent Loop BB43_14 Depth=2
                                        ; =>    This Inner Loop Header: Depth=3
	v_subrev_nc_u32_e32 v16, s23, v16
	v_add_nc_u32_e32 v17, 1, v17
	s_delay_alu instid0(VALU_DEP_2)
	v_cmp_gt_i32_e64 s0, s23, v16
	s_wait_alu 0xfffe
	s_or_b32 s2, s0, s2
	s_wait_alu 0xfffe
	s_and_not1_b32 exec_lo, exec_lo, s2
	s_cbranch_execnz .LBB43_20
; %bb.21:                               ;   in Loop: Header=BB43_14 Depth=2
	s_or_b32 exec_lo, exec_lo, s2
	s_branch .LBB43_13
.LBB43_22:
	s_or_b32 exec_lo, exec_lo, s45
.LBB43_23:
	s_delay_alu instid0(SALU_CYCLE_1)
	s_or_b32 exec_lo, exec_lo, s44
	s_load_b64 s[0:1], s[34:35], 0x0
	v_bfe_u32 v1, v8, 16, 1
	v_cmp_o_f32_e32 vcc_lo, v8, v8
	s_bcnt1_i32_b32 s3, s42
	s_mov_b32 s2, -1
	s_wait_alu 0xfffe
	s_cmp_lg_u32 s3, 1
	v_add3_u32 v1, v8, v1, 0x7fff
	s_delay_alu instid0(VALU_DEP_1) | instskip(SKIP_2) | instid1(VALU_DEP_2)
	v_lshrrev_b32_e32 v2, 16, v1
	v_lshl_add_u32 v1, v0, 1, 0
	s_wait_alu 0xfffd
	v_cndmask_b32_e32 v2, 0x7fc0, v2, vcc_lo
	ds_store_b16 v1, v2
	s_wait_dscnt 0x0
	s_barrier_signal -1
	s_barrier_wait -1
	global_inv scope:SCOPE_SE
	s_cbranch_scc1 .LBB43_32
; %bb.24:
	s_and_not1_b32 vcc_lo, exec_lo, s2
	s_wait_alu 0xfffe
	s_cbranch_vccnz .LBB43_28
.LBB43_25:
	s_cmp_lt_u32 s42, 2
	s_cbranch_scc0 .LBB43_30
.LBB43_26:
	s_mov_b32 s2, exec_lo
	v_cmpx_eq_u32_e32 0, v0
	s_cbranch_execz .LBB43_28
; %bb.27:
	v_mov_b32_e32 v0, 0
	s_mul_i32 s2, s15, s31
	s_mul_i32 s8, s4, s41
	s_wait_alu 0xfffe
	s_ashr_i32 s3, s2, 31
	s_ashr_i32 s9, s8, 31
	ds_load_u16 v1, v0
	s_wait_alu 0xfffe
	s_lshl_b64 s[2:3], s[2:3], 1
	s_mul_i32 s4, s5, s40
	s_wait_kmcnt 0x0
	s_wait_alu 0xfffe
	s_add_nc_u64 s[0:1], s[0:1], s[2:3]
	s_lshl_b64 s[2:3], s[8:9], 1
	s_ashr_i32 s5, s4, 31
	s_wait_alu 0xfffe
	s_add_nc_u64 s[0:1], s[0:1], s[2:3]
	s_mul_i32 s2, s6, s33
	s_lshl_b64 s[4:5], s[4:5], 1
	s_wait_alu 0xfffe
	s_ashr_i32 s3, s2, 31
	s_add_nc_u64 s[0:1], s[0:1], s[4:5]
	s_wait_alu 0xfffe
	s_lshl_b64 s[2:3], s[2:3], 1
	s_wait_alu 0xfffe
	s_add_nc_u64 s[0:1], s[0:1], s[2:3]
	s_wait_dscnt 0x0
	global_store_b16 v0, v1, s[0:1]
.LBB43_28:
	s_endpgm
.LBB43_29:                              ;   in Loop: Header=BB43_30 Depth=1
	s_or_b32 exec_lo, exec_lo, s3
	s_cmp_lt_u32 s42, 4
	s_mov_b32 s42, s2
	s_wait_loadcnt_dscnt 0x0
	s_barrier_signal -1
	s_barrier_wait -1
	global_inv scope:SCOPE_SE
	s_cbranch_scc1 .LBB43_26
.LBB43_30:                              ; =>This Inner Loop Header: Depth=1
	s_wait_alu 0xfffe
	s_lshr_b32 s2, s42, 1
	s_mov_b32 s3, exec_lo
	s_wait_alu 0xfffe
	v_cmpx_gt_u32_e64 s2, v0
	s_cbranch_execz .LBB43_29
; %bb.31:                               ;   in Loop: Header=BB43_30 Depth=1
	v_lshl_add_u32 v2, s2, 1, v1
	ds_load_u16 v2, v2
	ds_load_u16 v3, v1
	s_wait_dscnt 0x1
	v_lshlrev_b32_e32 v2, 16, v2
	s_wait_dscnt 0x0
	v_lshlrev_b32_e32 v3, 16, v3
	s_delay_alu instid0(VALU_DEP_1) | instskip(NEXT) | instid1(VALU_DEP_1)
	v_add_f32_e32 v2, v2, v3
	v_bfe_u32 v3, v2, 16, 1
	v_cmp_o_f32_e32 vcc_lo, v2, v2
	s_delay_alu instid0(VALU_DEP_2) | instskip(NEXT) | instid1(VALU_DEP_1)
	v_add3_u32 v3, v2, v3, 0x7fff
	v_lshrrev_b32_e32 v3, 16, v3
	s_wait_alu 0xfffd
	s_delay_alu instid0(VALU_DEP_1)
	v_cndmask_b32_e32 v2, 0x7fc0, v3, vcc_lo
	ds_store_b16 v1, v2
	s_branch .LBB43_29
.LBB43_32:
	s_trap 2
	; divergent unreachable
	s_cbranch_execz .LBB43_25
	s_branch .LBB43_28
	.section	.rodata,"a",@progbits
	.p2align	6, 0x0
	.amdhsa_kernel _ZN2at6native12_GLOBAL__N_144conv_depthwise3d_cuda_backward_weight_kernelIN3c108BFloat16EfLin1ELin1EEEvN5torch10headeronly6detail27GenericPackedTensorAccessorINS7_14TensorAccessorINS3_8ArrayRefIlEEKT_Lm4ENS6_16DefaultPtrTraitsEiEENS_6detail16IndexBoundsCheckILm5EiEESD_Lm5ESE_iEESJ_NS8_INS9_ISB_SC_Lm4ESE_iEESI_SC_Lm5ESE_iEEiiiiiiiii
		.amdhsa_group_segment_fixed_size 0
		.amdhsa_private_segment_fixed_size 0
		.amdhsa_kernarg_size 440
		.amdhsa_user_sgpr_count 2
		.amdhsa_user_sgpr_dispatch_ptr 0
		.amdhsa_user_sgpr_queue_ptr 0
		.amdhsa_user_sgpr_kernarg_segment_ptr 1
		.amdhsa_user_sgpr_dispatch_id 0
		.amdhsa_user_sgpr_private_segment_size 0
		.amdhsa_wavefront_size32 1
		.amdhsa_uses_dynamic_stack 0
		.amdhsa_enable_private_segment 0
		.amdhsa_system_sgpr_workgroup_id_x 1
		.amdhsa_system_sgpr_workgroup_id_y 0
		.amdhsa_system_sgpr_workgroup_id_z 0
		.amdhsa_system_sgpr_workgroup_info 0
		.amdhsa_system_vgpr_workitem_id 0
		.amdhsa_next_free_vgpr 19
		.amdhsa_next_free_sgpr 48
		.amdhsa_reserve_vcc 1
		.amdhsa_float_round_mode_32 0
		.amdhsa_float_round_mode_16_64 0
		.amdhsa_float_denorm_mode_32 3
		.amdhsa_float_denorm_mode_16_64 3
		.amdhsa_fp16_overflow 0
		.amdhsa_workgroup_processor_mode 1
		.amdhsa_memory_ordered 1
		.amdhsa_forward_progress 1
		.amdhsa_inst_pref_size 20
		.amdhsa_round_robin_scheduling 0
		.amdhsa_exception_fp_ieee_invalid_op 0
		.amdhsa_exception_fp_denorm_src 0
		.amdhsa_exception_fp_ieee_div_zero 0
		.amdhsa_exception_fp_ieee_overflow 0
		.amdhsa_exception_fp_ieee_underflow 0
		.amdhsa_exception_fp_ieee_inexact 0
		.amdhsa_exception_int_div_zero 0
	.end_amdhsa_kernel
	.section	.text._ZN2at6native12_GLOBAL__N_144conv_depthwise3d_cuda_backward_weight_kernelIN3c108BFloat16EfLin1ELin1EEEvN5torch10headeronly6detail27GenericPackedTensorAccessorINS7_14TensorAccessorINS3_8ArrayRefIlEEKT_Lm4ENS6_16DefaultPtrTraitsEiEENS_6detail16IndexBoundsCheckILm5EiEESD_Lm5ESE_iEESJ_NS8_INS9_ISB_SC_Lm4ESE_iEESI_SC_Lm5ESE_iEEiiiiiiiii,"axG",@progbits,_ZN2at6native12_GLOBAL__N_144conv_depthwise3d_cuda_backward_weight_kernelIN3c108BFloat16EfLin1ELin1EEEvN5torch10headeronly6detail27GenericPackedTensorAccessorINS7_14TensorAccessorINS3_8ArrayRefIlEEKT_Lm4ENS6_16DefaultPtrTraitsEiEENS_6detail16IndexBoundsCheckILm5EiEESD_Lm5ESE_iEESJ_NS8_INS9_ISB_SC_Lm4ESE_iEESI_SC_Lm5ESE_iEEiiiiiiiii,comdat
.Lfunc_end43:
	.size	_ZN2at6native12_GLOBAL__N_144conv_depthwise3d_cuda_backward_weight_kernelIN3c108BFloat16EfLin1ELin1EEEvN5torch10headeronly6detail27GenericPackedTensorAccessorINS7_14TensorAccessorINS3_8ArrayRefIlEEKT_Lm4ENS6_16DefaultPtrTraitsEiEENS_6detail16IndexBoundsCheckILm5EiEESD_Lm5ESE_iEESJ_NS8_INS9_ISB_SC_Lm4ESE_iEESI_SC_Lm5ESE_iEEiiiiiiiii, .Lfunc_end43-_ZN2at6native12_GLOBAL__N_144conv_depthwise3d_cuda_backward_weight_kernelIN3c108BFloat16EfLin1ELin1EEEvN5torch10headeronly6detail27GenericPackedTensorAccessorINS7_14TensorAccessorINS3_8ArrayRefIlEEKT_Lm4ENS6_16DefaultPtrTraitsEiEENS_6detail16IndexBoundsCheckILm5EiEESD_Lm5ESE_iEESJ_NS8_INS9_ISB_SC_Lm4ESE_iEESI_SC_Lm5ESE_iEEiiiiiiiii
                                        ; -- End function
	.set _ZN2at6native12_GLOBAL__N_144conv_depthwise3d_cuda_backward_weight_kernelIN3c108BFloat16EfLin1ELin1EEEvN5torch10headeronly6detail27GenericPackedTensorAccessorINS7_14TensorAccessorINS3_8ArrayRefIlEEKT_Lm4ENS6_16DefaultPtrTraitsEiEENS_6detail16IndexBoundsCheckILm5EiEESD_Lm5ESE_iEESJ_NS8_INS9_ISB_SC_Lm4ESE_iEESI_SC_Lm5ESE_iEEiiiiiiiii.num_vgpr, 19
	.set _ZN2at6native12_GLOBAL__N_144conv_depthwise3d_cuda_backward_weight_kernelIN3c108BFloat16EfLin1ELin1EEEvN5torch10headeronly6detail27GenericPackedTensorAccessorINS7_14TensorAccessorINS3_8ArrayRefIlEEKT_Lm4ENS6_16DefaultPtrTraitsEiEENS_6detail16IndexBoundsCheckILm5EiEESD_Lm5ESE_iEESJ_NS8_INS9_ISB_SC_Lm4ESE_iEESI_SC_Lm5ESE_iEEiiiiiiiii.num_agpr, 0
	.set _ZN2at6native12_GLOBAL__N_144conv_depthwise3d_cuda_backward_weight_kernelIN3c108BFloat16EfLin1ELin1EEEvN5torch10headeronly6detail27GenericPackedTensorAccessorINS7_14TensorAccessorINS3_8ArrayRefIlEEKT_Lm4ENS6_16DefaultPtrTraitsEiEENS_6detail16IndexBoundsCheckILm5EiEESD_Lm5ESE_iEESJ_NS8_INS9_ISB_SC_Lm4ESE_iEESI_SC_Lm5ESE_iEEiiiiiiiii.numbered_sgpr, 48
	.set _ZN2at6native12_GLOBAL__N_144conv_depthwise3d_cuda_backward_weight_kernelIN3c108BFloat16EfLin1ELin1EEEvN5torch10headeronly6detail27GenericPackedTensorAccessorINS7_14TensorAccessorINS3_8ArrayRefIlEEKT_Lm4ENS6_16DefaultPtrTraitsEiEENS_6detail16IndexBoundsCheckILm5EiEESD_Lm5ESE_iEESJ_NS8_INS9_ISB_SC_Lm4ESE_iEESI_SC_Lm5ESE_iEEiiiiiiiii.num_named_barrier, 0
	.set _ZN2at6native12_GLOBAL__N_144conv_depthwise3d_cuda_backward_weight_kernelIN3c108BFloat16EfLin1ELin1EEEvN5torch10headeronly6detail27GenericPackedTensorAccessorINS7_14TensorAccessorINS3_8ArrayRefIlEEKT_Lm4ENS6_16DefaultPtrTraitsEiEENS_6detail16IndexBoundsCheckILm5EiEESD_Lm5ESE_iEESJ_NS8_INS9_ISB_SC_Lm4ESE_iEESI_SC_Lm5ESE_iEEiiiiiiiii.private_seg_size, 0
	.set _ZN2at6native12_GLOBAL__N_144conv_depthwise3d_cuda_backward_weight_kernelIN3c108BFloat16EfLin1ELin1EEEvN5torch10headeronly6detail27GenericPackedTensorAccessorINS7_14TensorAccessorINS3_8ArrayRefIlEEKT_Lm4ENS6_16DefaultPtrTraitsEiEENS_6detail16IndexBoundsCheckILm5EiEESD_Lm5ESE_iEESJ_NS8_INS9_ISB_SC_Lm4ESE_iEESI_SC_Lm5ESE_iEEiiiiiiiii.uses_vcc, 1
	.set _ZN2at6native12_GLOBAL__N_144conv_depthwise3d_cuda_backward_weight_kernelIN3c108BFloat16EfLin1ELin1EEEvN5torch10headeronly6detail27GenericPackedTensorAccessorINS7_14TensorAccessorINS3_8ArrayRefIlEEKT_Lm4ENS6_16DefaultPtrTraitsEiEENS_6detail16IndexBoundsCheckILm5EiEESD_Lm5ESE_iEESJ_NS8_INS9_ISB_SC_Lm4ESE_iEESI_SC_Lm5ESE_iEEiiiiiiiii.uses_flat_scratch, 0
	.set _ZN2at6native12_GLOBAL__N_144conv_depthwise3d_cuda_backward_weight_kernelIN3c108BFloat16EfLin1ELin1EEEvN5torch10headeronly6detail27GenericPackedTensorAccessorINS7_14TensorAccessorINS3_8ArrayRefIlEEKT_Lm4ENS6_16DefaultPtrTraitsEiEENS_6detail16IndexBoundsCheckILm5EiEESD_Lm5ESE_iEESJ_NS8_INS9_ISB_SC_Lm4ESE_iEESI_SC_Lm5ESE_iEEiiiiiiiii.has_dyn_sized_stack, 0
	.set _ZN2at6native12_GLOBAL__N_144conv_depthwise3d_cuda_backward_weight_kernelIN3c108BFloat16EfLin1ELin1EEEvN5torch10headeronly6detail27GenericPackedTensorAccessorINS7_14TensorAccessorINS3_8ArrayRefIlEEKT_Lm4ENS6_16DefaultPtrTraitsEiEENS_6detail16IndexBoundsCheckILm5EiEESD_Lm5ESE_iEESJ_NS8_INS9_ISB_SC_Lm4ESE_iEESI_SC_Lm5ESE_iEEiiiiiiiii.has_recursion, 0
	.set _ZN2at6native12_GLOBAL__N_144conv_depthwise3d_cuda_backward_weight_kernelIN3c108BFloat16EfLin1ELin1EEEvN5torch10headeronly6detail27GenericPackedTensorAccessorINS7_14TensorAccessorINS3_8ArrayRefIlEEKT_Lm4ENS6_16DefaultPtrTraitsEiEENS_6detail16IndexBoundsCheckILm5EiEESD_Lm5ESE_iEESJ_NS8_INS9_ISB_SC_Lm4ESE_iEESI_SC_Lm5ESE_iEEiiiiiiiii.has_indirect_call, 0
	.section	.AMDGPU.csdata,"",@progbits
; Kernel info:
; codeLenInByte = 2476
; TotalNumSgprs: 50
; NumVgprs: 19
; ScratchSize: 0
; MemoryBound: 0
; FloatMode: 240
; IeeeMode: 1
; LDSByteSize: 0 bytes/workgroup (compile time only)
; SGPRBlocks: 0
; VGPRBlocks: 2
; NumSGPRsForWavesPerEU: 50
; NumVGPRsForWavesPerEU: 19
; Occupancy: 16
; WaveLimiterHint : 1
; COMPUTE_PGM_RSRC2:SCRATCH_EN: 0
; COMPUTE_PGM_RSRC2:USER_SGPR: 2
; COMPUTE_PGM_RSRC2:TRAP_HANDLER: 0
; COMPUTE_PGM_RSRC2:TGID_X_EN: 1
; COMPUTE_PGM_RSRC2:TGID_Y_EN: 0
; COMPUTE_PGM_RSRC2:TGID_Z_EN: 0
; COMPUTE_PGM_RSRC2:TIDIG_COMP_CNT: 0
	.section	.AMDGPU.gpr_maximums,"",@progbits
	.set amdgpu.max_num_vgpr, 0
	.set amdgpu.max_num_agpr, 0
	.set amdgpu.max_num_sgpr, 0
	.section	.AMDGPU.csdata,"",@progbits
	.type	__hip_cuid_6ca290df6a467378,@object ; @__hip_cuid_6ca290df6a467378
	.section	.bss,"aw",@nobits
	.globl	__hip_cuid_6ca290df6a467378
__hip_cuid_6ca290df6a467378:
	.byte	0                               ; 0x0
	.size	__hip_cuid_6ca290df6a467378, 1

	.ident	"AMD clang version 22.0.0git (https://github.com/RadeonOpenCompute/llvm-project roc-7.2.4 26084 f58b06dce1f9c15707c5f808fd002e18c2accf7e)"
	.section	".note.GNU-stack","",@progbits
	.addrsig
	.addrsig_sym __hip_cuid_6ca290df6a467378
	.amdgpu_metadata
---
amdhsa.kernels:
  - .args:
      - .offset:         0
        .size:           48
        .value_kind:     by_value
      - .offset:         48
        .size:           48
        .value_kind:     by_value
      - .offset:         96
        .size:           48
        .value_kind:     by_value
      - .address_space:  global
        .offset:         144
        .size:           8
        .value_kind:     global_buffer
      - .offset:         152
        .size:           4
        .value_kind:     by_value
      - .offset:         156
        .size:           4
        .value_kind:     by_value
      - .offset:         160
        .size:           4
        .value_kind:     by_value
      - .offset:         164
        .size:           4
        .value_kind:     by_value
      - .offset:         168
        .size:           4
        .value_kind:     by_value
      - .offset:         172
        .size:           4
        .value_kind:     by_value
      - .offset:         176
        .size:           4
        .value_kind:     by_value
      - .offset:         180
        .size:           4
        .value_kind:     by_value
      - .offset:         184
        .size:           4
        .value_kind:     by_value
      - .offset:         192
        .size:           4
        .value_kind:     hidden_block_count_x
      - .offset:         196
        .size:           4
        .value_kind:     hidden_block_count_y
      - .offset:         200
        .size:           4
        .value_kind:     hidden_block_count_z
      - .offset:         204
        .size:           2
        .value_kind:     hidden_group_size_x
      - .offset:         206
        .size:           2
        .value_kind:     hidden_group_size_y
      - .offset:         208
        .size:           2
        .value_kind:     hidden_group_size_z
      - .offset:         210
        .size:           2
        .value_kind:     hidden_remainder_x
      - .offset:         212
        .size:           2
        .value_kind:     hidden_remainder_y
      - .offset:         214
        .size:           2
        .value_kind:     hidden_remainder_z
      - .offset:         232
        .size:           8
        .value_kind:     hidden_global_offset_x
      - .offset:         240
        .size:           8
        .value_kind:     hidden_global_offset_y
      - .offset:         248
        .size:           8
        .value_kind:     hidden_global_offset_z
      - .offset:         256
        .size:           2
        .value_kind:     hidden_grid_dims
    .group_segment_fixed_size: 0
    .kernarg_segment_align: 8
    .kernarg_segment_size: 448
    .language:       OpenCL C
    .language_version:
      - 2
      - 0
    .max_flat_workgroup_size: 1024
    .name:           _ZN2at6native12_GLOBAL__N_128conv_depthwise3d_cuda_kernelIddLi3ELi3ELi3ELi1ELi1ELi1EEEvN5torch10headeronly6detail27GenericPackedTensorAccessorINS5_14TensorAccessorIN3c108ArrayRefIlEEKT_Lm4ENS4_16DefaultPtrTraitsEiEENS_6detail16IndexBoundsCheckILm5EiEESC_Lm5ESD_iEENS6_INS7_ISA_SB_Lm4ESD_iEESH_SB_Lm5ESD_iEESI_PSC_iiiiiiiii
    .private_segment_fixed_size: 0
    .sgpr_count:     78
    .sgpr_spill_count: 0
    .symbol:         _ZN2at6native12_GLOBAL__N_128conv_depthwise3d_cuda_kernelIddLi3ELi3ELi3ELi1ELi1ELi1EEEvN5torch10headeronly6detail27GenericPackedTensorAccessorINS5_14TensorAccessorIN3c108ArrayRefIlEEKT_Lm4ENS4_16DefaultPtrTraitsEiEENS_6detail16IndexBoundsCheckILm5EiEESC_Lm5ESD_iEENS6_INS7_ISA_SB_Lm4ESD_iEESH_SB_Lm5ESD_iEESI_PSC_iiiiiiiii.kd
    .uniform_work_group_size: 1
    .uses_dynamic_stack: false
    .vgpr_count:     25
    .vgpr_spill_count: 0
    .wavefront_size: 32
    .workgroup_processor_mode: 1
  - .args:
      - .offset:         0
        .size:           48
        .value_kind:     by_value
      - .offset:         48
        .size:           48
        .value_kind:     by_value
      - .offset:         96
        .size:           48
        .value_kind:     by_value
      - .address_space:  global
        .offset:         144
        .size:           8
        .value_kind:     global_buffer
      - .offset:         152
        .size:           4
        .value_kind:     by_value
      - .offset:         156
        .size:           4
        .value_kind:     by_value
      - .offset:         160
        .size:           4
        .value_kind:     by_value
      - .offset:         164
        .size:           4
        .value_kind:     by_value
      - .offset:         168
        .size:           4
        .value_kind:     by_value
      - .offset:         172
        .size:           4
        .value_kind:     by_value
      - .offset:         176
        .size:           4
        .value_kind:     by_value
      - .offset:         180
        .size:           4
        .value_kind:     by_value
      - .offset:         184
        .size:           4
        .value_kind:     by_value
      - .offset:         192
        .size:           4
        .value_kind:     hidden_block_count_x
      - .offset:         196
        .size:           4
        .value_kind:     hidden_block_count_y
      - .offset:         200
        .size:           4
        .value_kind:     hidden_block_count_z
      - .offset:         204
        .size:           2
        .value_kind:     hidden_group_size_x
      - .offset:         206
        .size:           2
        .value_kind:     hidden_group_size_y
      - .offset:         208
        .size:           2
        .value_kind:     hidden_group_size_z
      - .offset:         210
        .size:           2
        .value_kind:     hidden_remainder_x
      - .offset:         212
        .size:           2
        .value_kind:     hidden_remainder_y
      - .offset:         214
        .size:           2
        .value_kind:     hidden_remainder_z
      - .offset:         232
        .size:           8
        .value_kind:     hidden_global_offset_x
      - .offset:         240
        .size:           8
        .value_kind:     hidden_global_offset_y
      - .offset:         248
        .size:           8
        .value_kind:     hidden_global_offset_z
      - .offset:         256
        .size:           2
        .value_kind:     hidden_grid_dims
    .group_segment_fixed_size: 0
    .kernarg_segment_align: 8
    .kernarg_segment_size: 448
    .language:       OpenCL C
    .language_version:
      - 2
      - 0
    .max_flat_workgroup_size: 1024
    .name:           _ZN2at6native12_GLOBAL__N_128conv_depthwise3d_cuda_kernelIddLin1ELin1ELin1ELi1ELi1ELi1EEEvN5torch10headeronly6detail27GenericPackedTensorAccessorINS5_14TensorAccessorIN3c108ArrayRefIlEEKT_Lm4ENS4_16DefaultPtrTraitsEiEENS_6detail16IndexBoundsCheckILm5EiEESC_Lm5ESD_iEENS6_INS7_ISA_SB_Lm4ESD_iEESH_SB_Lm5ESD_iEESI_PSC_iiiiiiiii
    .private_segment_fixed_size: 0
    .sgpr_count:     73
    .sgpr_spill_count: 0
    .symbol:         _ZN2at6native12_GLOBAL__N_128conv_depthwise3d_cuda_kernelIddLin1ELin1ELin1ELi1ELi1ELi1EEEvN5torch10headeronly6detail27GenericPackedTensorAccessorINS5_14TensorAccessorIN3c108ArrayRefIlEEKT_Lm4ENS4_16DefaultPtrTraitsEiEENS_6detail16IndexBoundsCheckILm5EiEESC_Lm5ESD_iEENS6_INS7_ISA_SB_Lm4ESD_iEESH_SB_Lm5ESD_iEESI_PSC_iiiiiiiii.kd
    .uniform_work_group_size: 1
    .uses_dynamic_stack: false
    .vgpr_count:     27
    .vgpr_spill_count: 0
    .wavefront_size: 32
    .workgroup_processor_mode: 1
  - .args:
      - .offset:         0
        .size:           48
        .value_kind:     by_value
      - .offset:         48
        .size:           48
        .value_kind:     by_value
      - .offset:         96
        .size:           48
        .value_kind:     by_value
      - .address_space:  global
        .offset:         144
        .size:           8
        .value_kind:     global_buffer
      - .offset:         152
        .size:           4
        .value_kind:     by_value
      - .offset:         156
        .size:           4
        .value_kind:     by_value
      - .offset:         160
        .size:           4
        .value_kind:     by_value
      - .offset:         164
        .size:           4
        .value_kind:     by_value
      - .offset:         168
        .size:           4
        .value_kind:     by_value
      - .offset:         172
        .size:           4
        .value_kind:     by_value
      - .offset:         176
        .size:           4
        .value_kind:     by_value
      - .offset:         180
        .size:           4
        .value_kind:     by_value
      - .offset:         184
        .size:           4
        .value_kind:     by_value
      - .offset:         192
        .size:           4
        .value_kind:     hidden_block_count_x
      - .offset:         196
        .size:           4
        .value_kind:     hidden_block_count_y
      - .offset:         200
        .size:           4
        .value_kind:     hidden_block_count_z
      - .offset:         204
        .size:           2
        .value_kind:     hidden_group_size_x
      - .offset:         206
        .size:           2
        .value_kind:     hidden_group_size_y
      - .offset:         208
        .size:           2
        .value_kind:     hidden_group_size_z
      - .offset:         210
        .size:           2
        .value_kind:     hidden_remainder_x
      - .offset:         212
        .size:           2
        .value_kind:     hidden_remainder_y
      - .offset:         214
        .size:           2
        .value_kind:     hidden_remainder_z
      - .offset:         232
        .size:           8
        .value_kind:     hidden_global_offset_x
      - .offset:         240
        .size:           8
        .value_kind:     hidden_global_offset_y
      - .offset:         248
        .size:           8
        .value_kind:     hidden_global_offset_z
      - .offset:         256
        .size:           2
        .value_kind:     hidden_grid_dims
    .group_segment_fixed_size: 0
    .kernarg_segment_align: 8
    .kernarg_segment_size: 448
    .language:       OpenCL C
    .language_version:
      - 2
      - 0
    .max_flat_workgroup_size: 1024
    .name:           _ZN2at6native12_GLOBAL__N_128conv_depthwise3d_cuda_kernelIddLin1ELin1ELin1ELin1ELin1ELin1EEEvN5torch10headeronly6detail27GenericPackedTensorAccessorINS5_14TensorAccessorIN3c108ArrayRefIlEEKT_Lm4ENS4_16DefaultPtrTraitsEiEENS_6detail16IndexBoundsCheckILm5EiEESC_Lm5ESD_iEENS6_INS7_ISA_SB_Lm4ESD_iEESH_SB_Lm5ESD_iEESI_PSC_iiiiiiiii
    .private_segment_fixed_size: 0
    .sgpr_count:     78
    .sgpr_spill_count: 0
    .symbol:         _ZN2at6native12_GLOBAL__N_128conv_depthwise3d_cuda_kernelIddLin1ELin1ELin1ELin1ELin1ELin1EEEvN5torch10headeronly6detail27GenericPackedTensorAccessorINS5_14TensorAccessorIN3c108ArrayRefIlEEKT_Lm4ENS4_16DefaultPtrTraitsEiEENS_6detail16IndexBoundsCheckILm5EiEESC_Lm5ESD_iEENS6_INS7_ISA_SB_Lm4ESD_iEESH_SB_Lm5ESD_iEESI_PSC_iiiiiiiii.kd
    .uniform_work_group_size: 1
    .uses_dynamic_stack: false
    .vgpr_count:     27
    .vgpr_spill_count: 0
    .wavefront_size: 32
    .workgroup_processor_mode: 1
  - .args:
      - .offset:         0
        .size:           48
        .value_kind:     by_value
      - .offset:         48
        .size:           48
        .value_kind:     by_value
      - .offset:         96
        .size:           48
        .value_kind:     by_value
      - .address_space:  global
        .offset:         144
        .size:           8
        .value_kind:     global_buffer
      - .offset:         152
        .size:           4
        .value_kind:     by_value
      - .offset:         156
        .size:           4
        .value_kind:     by_value
      - .offset:         160
        .size:           4
        .value_kind:     by_value
      - .offset:         164
        .size:           4
        .value_kind:     by_value
      - .offset:         168
        .size:           4
        .value_kind:     by_value
      - .offset:         172
        .size:           4
        .value_kind:     by_value
      - .offset:         176
        .size:           4
        .value_kind:     by_value
      - .offset:         180
        .size:           4
        .value_kind:     by_value
      - .offset:         184
        .size:           4
        .value_kind:     by_value
      - .offset:         192
        .size:           4
        .value_kind:     hidden_block_count_x
      - .offset:         196
        .size:           4
        .value_kind:     hidden_block_count_y
      - .offset:         200
        .size:           4
        .value_kind:     hidden_block_count_z
      - .offset:         204
        .size:           2
        .value_kind:     hidden_group_size_x
      - .offset:         206
        .size:           2
        .value_kind:     hidden_group_size_y
      - .offset:         208
        .size:           2
        .value_kind:     hidden_group_size_z
      - .offset:         210
        .size:           2
        .value_kind:     hidden_remainder_x
      - .offset:         212
        .size:           2
        .value_kind:     hidden_remainder_y
      - .offset:         214
        .size:           2
        .value_kind:     hidden_remainder_z
      - .offset:         232
        .size:           8
        .value_kind:     hidden_global_offset_x
      - .offset:         240
        .size:           8
        .value_kind:     hidden_global_offset_y
      - .offset:         248
        .size:           8
        .value_kind:     hidden_global_offset_z
      - .offset:         256
        .size:           2
        .value_kind:     hidden_grid_dims
    .group_segment_fixed_size: 0
    .kernarg_segment_align: 8
    .kernarg_segment_size: 448
    .language:       OpenCL C
    .language_version:
      - 2
      - 0
    .max_flat_workgroup_size: 1024
    .name:           _ZN2at6native12_GLOBAL__N_128conv_depthwise3d_cuda_kernelIffLi3ELi3ELi3ELi1ELi1ELi1EEEvN5torch10headeronly6detail27GenericPackedTensorAccessorINS5_14TensorAccessorIN3c108ArrayRefIlEEKT_Lm4ENS4_16DefaultPtrTraitsEiEENS_6detail16IndexBoundsCheckILm5EiEESC_Lm5ESD_iEENS6_INS7_ISA_SB_Lm4ESD_iEESH_SB_Lm5ESD_iEESI_PSC_iiiiiiiii
    .private_segment_fixed_size: 0
    .sgpr_count:     78
    .sgpr_spill_count: 0
    .symbol:         _ZN2at6native12_GLOBAL__N_128conv_depthwise3d_cuda_kernelIffLi3ELi3ELi3ELi1ELi1ELi1EEEvN5torch10headeronly6detail27GenericPackedTensorAccessorINS5_14TensorAccessorIN3c108ArrayRefIlEEKT_Lm4ENS4_16DefaultPtrTraitsEiEENS_6detail16IndexBoundsCheckILm5EiEESC_Lm5ESD_iEENS6_INS7_ISA_SB_Lm4ESD_iEESH_SB_Lm5ESD_iEESI_PSC_iiiiiiiii.kd
    .uniform_work_group_size: 1
    .uses_dynamic_stack: false
    .vgpr_count:     24
    .vgpr_spill_count: 0
    .wavefront_size: 32
    .workgroup_processor_mode: 1
  - .args:
      - .offset:         0
        .size:           48
        .value_kind:     by_value
      - .offset:         48
        .size:           48
        .value_kind:     by_value
      - .offset:         96
        .size:           48
        .value_kind:     by_value
      - .address_space:  global
        .offset:         144
        .size:           8
        .value_kind:     global_buffer
      - .offset:         152
        .size:           4
        .value_kind:     by_value
      - .offset:         156
        .size:           4
        .value_kind:     by_value
      - .offset:         160
        .size:           4
        .value_kind:     by_value
      - .offset:         164
        .size:           4
        .value_kind:     by_value
      - .offset:         168
        .size:           4
        .value_kind:     by_value
      - .offset:         172
        .size:           4
        .value_kind:     by_value
      - .offset:         176
        .size:           4
        .value_kind:     by_value
      - .offset:         180
        .size:           4
        .value_kind:     by_value
      - .offset:         184
        .size:           4
        .value_kind:     by_value
      - .offset:         192
        .size:           4
        .value_kind:     hidden_block_count_x
      - .offset:         196
        .size:           4
        .value_kind:     hidden_block_count_y
      - .offset:         200
        .size:           4
        .value_kind:     hidden_block_count_z
      - .offset:         204
        .size:           2
        .value_kind:     hidden_group_size_x
      - .offset:         206
        .size:           2
        .value_kind:     hidden_group_size_y
      - .offset:         208
        .size:           2
        .value_kind:     hidden_group_size_z
      - .offset:         210
        .size:           2
        .value_kind:     hidden_remainder_x
      - .offset:         212
        .size:           2
        .value_kind:     hidden_remainder_y
      - .offset:         214
        .size:           2
        .value_kind:     hidden_remainder_z
      - .offset:         232
        .size:           8
        .value_kind:     hidden_global_offset_x
      - .offset:         240
        .size:           8
        .value_kind:     hidden_global_offset_y
      - .offset:         248
        .size:           8
        .value_kind:     hidden_global_offset_z
      - .offset:         256
        .size:           2
        .value_kind:     hidden_grid_dims
    .group_segment_fixed_size: 0
    .kernarg_segment_align: 8
    .kernarg_segment_size: 448
    .language:       OpenCL C
    .language_version:
      - 2
      - 0
    .max_flat_workgroup_size: 1024
    .name:           _ZN2at6native12_GLOBAL__N_128conv_depthwise3d_cuda_kernelIffLin1ELin1ELin1ELi1ELi1ELi1EEEvN5torch10headeronly6detail27GenericPackedTensorAccessorINS5_14TensorAccessorIN3c108ArrayRefIlEEKT_Lm4ENS4_16DefaultPtrTraitsEiEENS_6detail16IndexBoundsCheckILm5EiEESC_Lm5ESD_iEENS6_INS7_ISA_SB_Lm4ESD_iEESH_SB_Lm5ESD_iEESI_PSC_iiiiiiiii
    .private_segment_fixed_size: 0
    .sgpr_count:     73
    .sgpr_spill_count: 0
    .symbol:         _ZN2at6native12_GLOBAL__N_128conv_depthwise3d_cuda_kernelIffLin1ELin1ELin1ELi1ELi1ELi1EEEvN5torch10headeronly6detail27GenericPackedTensorAccessorINS5_14TensorAccessorIN3c108ArrayRefIlEEKT_Lm4ENS4_16DefaultPtrTraitsEiEENS_6detail16IndexBoundsCheckILm5EiEESC_Lm5ESD_iEENS6_INS7_ISA_SB_Lm4ESD_iEESH_SB_Lm5ESD_iEESI_PSC_iiiiiiiii.kd
    .uniform_work_group_size: 1
    .uses_dynamic_stack: false
    .vgpr_count:     25
    .vgpr_spill_count: 0
    .wavefront_size: 32
    .workgroup_processor_mode: 1
  - .args:
      - .offset:         0
        .size:           48
        .value_kind:     by_value
      - .offset:         48
        .size:           48
        .value_kind:     by_value
      - .offset:         96
        .size:           48
        .value_kind:     by_value
      - .address_space:  global
        .offset:         144
        .size:           8
        .value_kind:     global_buffer
      - .offset:         152
        .size:           4
        .value_kind:     by_value
      - .offset:         156
        .size:           4
        .value_kind:     by_value
      - .offset:         160
        .size:           4
        .value_kind:     by_value
      - .offset:         164
        .size:           4
        .value_kind:     by_value
      - .offset:         168
        .size:           4
        .value_kind:     by_value
      - .offset:         172
        .size:           4
        .value_kind:     by_value
      - .offset:         176
        .size:           4
        .value_kind:     by_value
      - .offset:         180
        .size:           4
        .value_kind:     by_value
      - .offset:         184
        .size:           4
        .value_kind:     by_value
      - .offset:         192
        .size:           4
        .value_kind:     hidden_block_count_x
      - .offset:         196
        .size:           4
        .value_kind:     hidden_block_count_y
      - .offset:         200
        .size:           4
        .value_kind:     hidden_block_count_z
      - .offset:         204
        .size:           2
        .value_kind:     hidden_group_size_x
      - .offset:         206
        .size:           2
        .value_kind:     hidden_group_size_y
      - .offset:         208
        .size:           2
        .value_kind:     hidden_group_size_z
      - .offset:         210
        .size:           2
        .value_kind:     hidden_remainder_x
      - .offset:         212
        .size:           2
        .value_kind:     hidden_remainder_y
      - .offset:         214
        .size:           2
        .value_kind:     hidden_remainder_z
      - .offset:         232
        .size:           8
        .value_kind:     hidden_global_offset_x
      - .offset:         240
        .size:           8
        .value_kind:     hidden_global_offset_y
      - .offset:         248
        .size:           8
        .value_kind:     hidden_global_offset_z
      - .offset:         256
        .size:           2
        .value_kind:     hidden_grid_dims
    .group_segment_fixed_size: 0
    .kernarg_segment_align: 8
    .kernarg_segment_size: 448
    .language:       OpenCL C
    .language_version:
      - 2
      - 0
    .max_flat_workgroup_size: 1024
    .name:           _ZN2at6native12_GLOBAL__N_128conv_depthwise3d_cuda_kernelIffLin1ELin1ELin1ELin1ELin1ELin1EEEvN5torch10headeronly6detail27GenericPackedTensorAccessorINS5_14TensorAccessorIN3c108ArrayRefIlEEKT_Lm4ENS4_16DefaultPtrTraitsEiEENS_6detail16IndexBoundsCheckILm5EiEESC_Lm5ESD_iEENS6_INS7_ISA_SB_Lm4ESD_iEESH_SB_Lm5ESD_iEESI_PSC_iiiiiiiii
    .private_segment_fixed_size: 0
    .sgpr_count:     78
    .sgpr_spill_count: 0
    .symbol:         _ZN2at6native12_GLOBAL__N_128conv_depthwise3d_cuda_kernelIffLin1ELin1ELin1ELin1ELin1ELin1EEEvN5torch10headeronly6detail27GenericPackedTensorAccessorINS5_14TensorAccessorIN3c108ArrayRefIlEEKT_Lm4ENS4_16DefaultPtrTraitsEiEENS_6detail16IndexBoundsCheckILm5EiEESC_Lm5ESD_iEENS6_INS7_ISA_SB_Lm4ESD_iEESH_SB_Lm5ESD_iEESI_PSC_iiiiiiiii.kd
    .uniform_work_group_size: 1
    .uses_dynamic_stack: false
    .vgpr_count:     25
    .vgpr_spill_count: 0
    .wavefront_size: 32
    .workgroup_processor_mode: 1
  - .args:
      - .offset:         0
        .size:           48
        .value_kind:     by_value
      - .offset:         48
        .size:           48
        .value_kind:     by_value
      - .offset:         96
        .size:           48
        .value_kind:     by_value
      - .address_space:  global
        .offset:         144
        .size:           8
        .value_kind:     global_buffer
      - .offset:         152
        .size:           4
        .value_kind:     by_value
      - .offset:         156
        .size:           4
        .value_kind:     by_value
      - .offset:         160
        .size:           4
        .value_kind:     by_value
      - .offset:         164
        .size:           4
        .value_kind:     by_value
      - .offset:         168
        .size:           4
        .value_kind:     by_value
      - .offset:         172
        .size:           4
        .value_kind:     by_value
      - .offset:         176
        .size:           4
        .value_kind:     by_value
      - .offset:         180
        .size:           4
        .value_kind:     by_value
      - .offset:         184
        .size:           4
        .value_kind:     by_value
      - .offset:         192
        .size:           4
        .value_kind:     hidden_block_count_x
      - .offset:         196
        .size:           4
        .value_kind:     hidden_block_count_y
      - .offset:         200
        .size:           4
        .value_kind:     hidden_block_count_z
      - .offset:         204
        .size:           2
        .value_kind:     hidden_group_size_x
      - .offset:         206
        .size:           2
        .value_kind:     hidden_group_size_y
      - .offset:         208
        .size:           2
        .value_kind:     hidden_group_size_z
      - .offset:         210
        .size:           2
        .value_kind:     hidden_remainder_x
      - .offset:         212
        .size:           2
        .value_kind:     hidden_remainder_y
      - .offset:         214
        .size:           2
        .value_kind:     hidden_remainder_z
      - .offset:         232
        .size:           8
        .value_kind:     hidden_global_offset_x
      - .offset:         240
        .size:           8
        .value_kind:     hidden_global_offset_y
      - .offset:         248
        .size:           8
        .value_kind:     hidden_global_offset_z
      - .offset:         256
        .size:           2
        .value_kind:     hidden_grid_dims
    .group_segment_fixed_size: 0
    .kernarg_segment_align: 8
    .kernarg_segment_size: 448
    .language:       OpenCL C
    .language_version:
      - 2
      - 0
    .max_flat_workgroup_size: 1024
    .name:           _ZN2at6native12_GLOBAL__N_128conv_depthwise3d_cuda_kernelIN3c104HalfEfLi3ELi3ELi3ELi1ELi1ELi1EEEvN5torch10headeronly6detail27GenericPackedTensorAccessorINS7_14TensorAccessorINS3_8ArrayRefIlEEKT_Lm4ENS6_16DefaultPtrTraitsEiEENS_6detail16IndexBoundsCheckILm5EiEESD_Lm5ESE_iEENS8_INS9_ISB_SC_Lm4ESE_iEESI_SC_Lm5ESE_iEESJ_PSD_iiiiiiiii
    .private_segment_fixed_size: 0
    .sgpr_count:     78
    .sgpr_spill_count: 0
    .symbol:         _ZN2at6native12_GLOBAL__N_128conv_depthwise3d_cuda_kernelIN3c104HalfEfLi3ELi3ELi3ELi1ELi1ELi1EEEvN5torch10headeronly6detail27GenericPackedTensorAccessorINS7_14TensorAccessorINS3_8ArrayRefIlEEKT_Lm4ENS6_16DefaultPtrTraitsEiEENS_6detail16IndexBoundsCheckILm5EiEESD_Lm5ESE_iEENS8_INS9_ISB_SC_Lm4ESE_iEESI_SC_Lm5ESE_iEESJ_PSD_iiiiiiiii.kd
    .uniform_work_group_size: 1
    .uses_dynamic_stack: false
    .vgpr_count:     24
    .vgpr_spill_count: 0
    .wavefront_size: 32
    .workgroup_processor_mode: 1
  - .args:
      - .offset:         0
        .size:           48
        .value_kind:     by_value
      - .offset:         48
        .size:           48
        .value_kind:     by_value
      - .offset:         96
        .size:           48
        .value_kind:     by_value
      - .address_space:  global
        .offset:         144
        .size:           8
        .value_kind:     global_buffer
      - .offset:         152
        .size:           4
        .value_kind:     by_value
      - .offset:         156
        .size:           4
        .value_kind:     by_value
      - .offset:         160
        .size:           4
        .value_kind:     by_value
      - .offset:         164
        .size:           4
        .value_kind:     by_value
      - .offset:         168
        .size:           4
        .value_kind:     by_value
      - .offset:         172
        .size:           4
        .value_kind:     by_value
      - .offset:         176
        .size:           4
        .value_kind:     by_value
      - .offset:         180
        .size:           4
        .value_kind:     by_value
      - .offset:         184
        .size:           4
        .value_kind:     by_value
      - .offset:         192
        .size:           4
        .value_kind:     hidden_block_count_x
      - .offset:         196
        .size:           4
        .value_kind:     hidden_block_count_y
      - .offset:         200
        .size:           4
        .value_kind:     hidden_block_count_z
      - .offset:         204
        .size:           2
        .value_kind:     hidden_group_size_x
      - .offset:         206
        .size:           2
        .value_kind:     hidden_group_size_y
      - .offset:         208
        .size:           2
        .value_kind:     hidden_group_size_z
      - .offset:         210
        .size:           2
        .value_kind:     hidden_remainder_x
      - .offset:         212
        .size:           2
        .value_kind:     hidden_remainder_y
      - .offset:         214
        .size:           2
        .value_kind:     hidden_remainder_z
      - .offset:         232
        .size:           8
        .value_kind:     hidden_global_offset_x
      - .offset:         240
        .size:           8
        .value_kind:     hidden_global_offset_y
      - .offset:         248
        .size:           8
        .value_kind:     hidden_global_offset_z
      - .offset:         256
        .size:           2
        .value_kind:     hidden_grid_dims
    .group_segment_fixed_size: 0
    .kernarg_segment_align: 8
    .kernarg_segment_size: 448
    .language:       OpenCL C
    .language_version:
      - 2
      - 0
    .max_flat_workgroup_size: 1024
    .name:           _ZN2at6native12_GLOBAL__N_128conv_depthwise3d_cuda_kernelIN3c104HalfEfLin1ELin1ELin1ELi1ELi1ELi1EEEvN5torch10headeronly6detail27GenericPackedTensorAccessorINS7_14TensorAccessorINS3_8ArrayRefIlEEKT_Lm4ENS6_16DefaultPtrTraitsEiEENS_6detail16IndexBoundsCheckILm5EiEESD_Lm5ESE_iEENS8_INS9_ISB_SC_Lm4ESE_iEESI_SC_Lm5ESE_iEESJ_PSD_iiiiiiiii
    .private_segment_fixed_size: 0
    .sgpr_count:     73
    .sgpr_spill_count: 0
    .symbol:         _ZN2at6native12_GLOBAL__N_128conv_depthwise3d_cuda_kernelIN3c104HalfEfLin1ELin1ELin1ELi1ELi1ELi1EEEvN5torch10headeronly6detail27GenericPackedTensorAccessorINS7_14TensorAccessorINS3_8ArrayRefIlEEKT_Lm4ENS6_16DefaultPtrTraitsEiEENS_6detail16IndexBoundsCheckILm5EiEESD_Lm5ESE_iEENS8_INS9_ISB_SC_Lm4ESE_iEESI_SC_Lm5ESE_iEESJ_PSD_iiiiiiiii.kd
    .uniform_work_group_size: 1
    .uses_dynamic_stack: false
    .vgpr_count:     25
    .vgpr_spill_count: 0
    .wavefront_size: 32
    .workgroup_processor_mode: 1
  - .args:
      - .offset:         0
        .size:           48
        .value_kind:     by_value
      - .offset:         48
        .size:           48
        .value_kind:     by_value
      - .offset:         96
        .size:           48
        .value_kind:     by_value
      - .address_space:  global
        .offset:         144
        .size:           8
        .value_kind:     global_buffer
      - .offset:         152
        .size:           4
        .value_kind:     by_value
      - .offset:         156
        .size:           4
        .value_kind:     by_value
      - .offset:         160
        .size:           4
        .value_kind:     by_value
      - .offset:         164
        .size:           4
        .value_kind:     by_value
      - .offset:         168
        .size:           4
        .value_kind:     by_value
      - .offset:         172
        .size:           4
        .value_kind:     by_value
      - .offset:         176
        .size:           4
        .value_kind:     by_value
      - .offset:         180
        .size:           4
        .value_kind:     by_value
      - .offset:         184
        .size:           4
        .value_kind:     by_value
      - .offset:         192
        .size:           4
        .value_kind:     hidden_block_count_x
      - .offset:         196
        .size:           4
        .value_kind:     hidden_block_count_y
      - .offset:         200
        .size:           4
        .value_kind:     hidden_block_count_z
      - .offset:         204
        .size:           2
        .value_kind:     hidden_group_size_x
      - .offset:         206
        .size:           2
        .value_kind:     hidden_group_size_y
      - .offset:         208
        .size:           2
        .value_kind:     hidden_group_size_z
      - .offset:         210
        .size:           2
        .value_kind:     hidden_remainder_x
      - .offset:         212
        .size:           2
        .value_kind:     hidden_remainder_y
      - .offset:         214
        .size:           2
        .value_kind:     hidden_remainder_z
      - .offset:         232
        .size:           8
        .value_kind:     hidden_global_offset_x
      - .offset:         240
        .size:           8
        .value_kind:     hidden_global_offset_y
      - .offset:         248
        .size:           8
        .value_kind:     hidden_global_offset_z
      - .offset:         256
        .size:           2
        .value_kind:     hidden_grid_dims
    .group_segment_fixed_size: 0
    .kernarg_segment_align: 8
    .kernarg_segment_size: 448
    .language:       OpenCL C
    .language_version:
      - 2
      - 0
    .max_flat_workgroup_size: 1024
    .name:           _ZN2at6native12_GLOBAL__N_128conv_depthwise3d_cuda_kernelIN3c104HalfEfLin1ELin1ELin1ELin1ELin1ELin1EEEvN5torch10headeronly6detail27GenericPackedTensorAccessorINS7_14TensorAccessorINS3_8ArrayRefIlEEKT_Lm4ENS6_16DefaultPtrTraitsEiEENS_6detail16IndexBoundsCheckILm5EiEESD_Lm5ESE_iEENS8_INS9_ISB_SC_Lm4ESE_iEESI_SC_Lm5ESE_iEESJ_PSD_iiiiiiiii
    .private_segment_fixed_size: 0
    .sgpr_count:     78
    .sgpr_spill_count: 0
    .symbol:         _ZN2at6native12_GLOBAL__N_128conv_depthwise3d_cuda_kernelIN3c104HalfEfLin1ELin1ELin1ELin1ELin1ELin1EEEvN5torch10headeronly6detail27GenericPackedTensorAccessorINS7_14TensorAccessorINS3_8ArrayRefIlEEKT_Lm4ENS6_16DefaultPtrTraitsEiEENS_6detail16IndexBoundsCheckILm5EiEESD_Lm5ESE_iEENS8_INS9_ISB_SC_Lm4ESE_iEESI_SC_Lm5ESE_iEESJ_PSD_iiiiiiiii.kd
    .uniform_work_group_size: 1
    .uses_dynamic_stack: false
    .vgpr_count:     25
    .vgpr_spill_count: 0
    .wavefront_size: 32
    .workgroup_processor_mode: 1
  - .args:
      - .offset:         0
        .size:           48
        .value_kind:     by_value
      - .offset:         48
        .size:           48
        .value_kind:     by_value
      - .offset:         96
        .size:           48
        .value_kind:     by_value
      - .address_space:  global
        .offset:         144
        .size:           8
        .value_kind:     global_buffer
      - .offset:         152
        .size:           4
        .value_kind:     by_value
      - .offset:         156
        .size:           4
        .value_kind:     by_value
      - .offset:         160
        .size:           4
        .value_kind:     by_value
      - .offset:         164
        .size:           4
        .value_kind:     by_value
      - .offset:         168
        .size:           4
        .value_kind:     by_value
      - .offset:         172
        .size:           4
        .value_kind:     by_value
      - .offset:         176
        .size:           4
        .value_kind:     by_value
      - .offset:         180
        .size:           4
        .value_kind:     by_value
      - .offset:         184
        .size:           4
        .value_kind:     by_value
      - .offset:         192
        .size:           4
        .value_kind:     hidden_block_count_x
      - .offset:         196
        .size:           4
        .value_kind:     hidden_block_count_y
      - .offset:         200
        .size:           4
        .value_kind:     hidden_block_count_z
      - .offset:         204
        .size:           2
        .value_kind:     hidden_group_size_x
      - .offset:         206
        .size:           2
        .value_kind:     hidden_group_size_y
      - .offset:         208
        .size:           2
        .value_kind:     hidden_group_size_z
      - .offset:         210
        .size:           2
        .value_kind:     hidden_remainder_x
      - .offset:         212
        .size:           2
        .value_kind:     hidden_remainder_y
      - .offset:         214
        .size:           2
        .value_kind:     hidden_remainder_z
      - .offset:         232
        .size:           8
        .value_kind:     hidden_global_offset_x
      - .offset:         240
        .size:           8
        .value_kind:     hidden_global_offset_y
      - .offset:         248
        .size:           8
        .value_kind:     hidden_global_offset_z
      - .offset:         256
        .size:           2
        .value_kind:     hidden_grid_dims
    .group_segment_fixed_size: 0
    .kernarg_segment_align: 8
    .kernarg_segment_size: 448
    .language:       OpenCL C
    .language_version:
      - 2
      - 0
    .max_flat_workgroup_size: 1024
    .name:           _ZN2at6native12_GLOBAL__N_128conv_depthwise3d_cuda_kernelIN3c108BFloat16EfLi3ELi3ELi3ELi1ELi1ELi1EEEvN5torch10headeronly6detail27GenericPackedTensorAccessorINS7_14TensorAccessorINS3_8ArrayRefIlEEKT_Lm4ENS6_16DefaultPtrTraitsEiEENS_6detail16IndexBoundsCheckILm5EiEESD_Lm5ESE_iEENS8_INS9_ISB_SC_Lm4ESE_iEESI_SC_Lm5ESE_iEESJ_PSD_iiiiiiiii
    .private_segment_fixed_size: 0
    .sgpr_count:     78
    .sgpr_spill_count: 0
    .symbol:         _ZN2at6native12_GLOBAL__N_128conv_depthwise3d_cuda_kernelIN3c108BFloat16EfLi3ELi3ELi3ELi1ELi1ELi1EEEvN5torch10headeronly6detail27GenericPackedTensorAccessorINS7_14TensorAccessorINS3_8ArrayRefIlEEKT_Lm4ENS6_16DefaultPtrTraitsEiEENS_6detail16IndexBoundsCheckILm5EiEESD_Lm5ESE_iEENS8_INS9_ISB_SC_Lm4ESE_iEESI_SC_Lm5ESE_iEESJ_PSD_iiiiiiiii.kd
    .uniform_work_group_size: 1
    .uses_dynamic_stack: false
    .vgpr_count:     24
    .vgpr_spill_count: 0
    .wavefront_size: 32
    .workgroup_processor_mode: 1
  - .args:
      - .offset:         0
        .size:           48
        .value_kind:     by_value
      - .offset:         48
        .size:           48
        .value_kind:     by_value
      - .offset:         96
        .size:           48
        .value_kind:     by_value
      - .address_space:  global
        .offset:         144
        .size:           8
        .value_kind:     global_buffer
      - .offset:         152
        .size:           4
        .value_kind:     by_value
      - .offset:         156
        .size:           4
        .value_kind:     by_value
      - .offset:         160
        .size:           4
        .value_kind:     by_value
      - .offset:         164
        .size:           4
        .value_kind:     by_value
      - .offset:         168
        .size:           4
        .value_kind:     by_value
      - .offset:         172
        .size:           4
        .value_kind:     by_value
      - .offset:         176
        .size:           4
        .value_kind:     by_value
      - .offset:         180
        .size:           4
        .value_kind:     by_value
      - .offset:         184
        .size:           4
        .value_kind:     by_value
      - .offset:         192
        .size:           4
        .value_kind:     hidden_block_count_x
      - .offset:         196
        .size:           4
        .value_kind:     hidden_block_count_y
      - .offset:         200
        .size:           4
        .value_kind:     hidden_block_count_z
      - .offset:         204
        .size:           2
        .value_kind:     hidden_group_size_x
      - .offset:         206
        .size:           2
        .value_kind:     hidden_group_size_y
      - .offset:         208
        .size:           2
        .value_kind:     hidden_group_size_z
      - .offset:         210
        .size:           2
        .value_kind:     hidden_remainder_x
      - .offset:         212
        .size:           2
        .value_kind:     hidden_remainder_y
      - .offset:         214
        .size:           2
        .value_kind:     hidden_remainder_z
      - .offset:         232
        .size:           8
        .value_kind:     hidden_global_offset_x
      - .offset:         240
        .size:           8
        .value_kind:     hidden_global_offset_y
      - .offset:         248
        .size:           8
        .value_kind:     hidden_global_offset_z
      - .offset:         256
        .size:           2
        .value_kind:     hidden_grid_dims
    .group_segment_fixed_size: 0
    .kernarg_segment_align: 8
    .kernarg_segment_size: 448
    .language:       OpenCL C
    .language_version:
      - 2
      - 0
    .max_flat_workgroup_size: 1024
    .name:           _ZN2at6native12_GLOBAL__N_128conv_depthwise3d_cuda_kernelIN3c108BFloat16EfLin1ELin1ELin1ELi1ELi1ELi1EEEvN5torch10headeronly6detail27GenericPackedTensorAccessorINS7_14TensorAccessorINS3_8ArrayRefIlEEKT_Lm4ENS6_16DefaultPtrTraitsEiEENS_6detail16IndexBoundsCheckILm5EiEESD_Lm5ESE_iEENS8_INS9_ISB_SC_Lm4ESE_iEESI_SC_Lm5ESE_iEESJ_PSD_iiiiiiiii
    .private_segment_fixed_size: 0
    .sgpr_count:     73
    .sgpr_spill_count: 0
    .symbol:         _ZN2at6native12_GLOBAL__N_128conv_depthwise3d_cuda_kernelIN3c108BFloat16EfLin1ELin1ELin1ELi1ELi1ELi1EEEvN5torch10headeronly6detail27GenericPackedTensorAccessorINS7_14TensorAccessorINS3_8ArrayRefIlEEKT_Lm4ENS6_16DefaultPtrTraitsEiEENS_6detail16IndexBoundsCheckILm5EiEESD_Lm5ESE_iEENS8_INS9_ISB_SC_Lm4ESE_iEESI_SC_Lm5ESE_iEESJ_PSD_iiiiiiiii.kd
    .uniform_work_group_size: 1
    .uses_dynamic_stack: false
    .vgpr_count:     25
    .vgpr_spill_count: 0
    .wavefront_size: 32
    .workgroup_processor_mode: 1
  - .args:
      - .offset:         0
        .size:           48
        .value_kind:     by_value
      - .offset:         48
        .size:           48
        .value_kind:     by_value
      - .offset:         96
        .size:           48
        .value_kind:     by_value
      - .address_space:  global
        .offset:         144
        .size:           8
        .value_kind:     global_buffer
      - .offset:         152
        .size:           4
        .value_kind:     by_value
      - .offset:         156
        .size:           4
        .value_kind:     by_value
      - .offset:         160
        .size:           4
        .value_kind:     by_value
      - .offset:         164
        .size:           4
        .value_kind:     by_value
      - .offset:         168
        .size:           4
        .value_kind:     by_value
      - .offset:         172
        .size:           4
        .value_kind:     by_value
      - .offset:         176
        .size:           4
        .value_kind:     by_value
      - .offset:         180
        .size:           4
        .value_kind:     by_value
      - .offset:         184
        .size:           4
        .value_kind:     by_value
      - .offset:         192
        .size:           4
        .value_kind:     hidden_block_count_x
      - .offset:         196
        .size:           4
        .value_kind:     hidden_block_count_y
      - .offset:         200
        .size:           4
        .value_kind:     hidden_block_count_z
      - .offset:         204
        .size:           2
        .value_kind:     hidden_group_size_x
      - .offset:         206
        .size:           2
        .value_kind:     hidden_group_size_y
      - .offset:         208
        .size:           2
        .value_kind:     hidden_group_size_z
      - .offset:         210
        .size:           2
        .value_kind:     hidden_remainder_x
      - .offset:         212
        .size:           2
        .value_kind:     hidden_remainder_y
      - .offset:         214
        .size:           2
        .value_kind:     hidden_remainder_z
      - .offset:         232
        .size:           8
        .value_kind:     hidden_global_offset_x
      - .offset:         240
        .size:           8
        .value_kind:     hidden_global_offset_y
      - .offset:         248
        .size:           8
        .value_kind:     hidden_global_offset_z
      - .offset:         256
        .size:           2
        .value_kind:     hidden_grid_dims
    .group_segment_fixed_size: 0
    .kernarg_segment_align: 8
    .kernarg_segment_size: 448
    .language:       OpenCL C
    .language_version:
      - 2
      - 0
    .max_flat_workgroup_size: 1024
    .name:           _ZN2at6native12_GLOBAL__N_128conv_depthwise3d_cuda_kernelIN3c108BFloat16EfLin1ELin1ELin1ELin1ELin1ELin1EEEvN5torch10headeronly6detail27GenericPackedTensorAccessorINS7_14TensorAccessorINS3_8ArrayRefIlEEKT_Lm4ENS6_16DefaultPtrTraitsEiEENS_6detail16IndexBoundsCheckILm5EiEESD_Lm5ESE_iEENS8_INS9_ISB_SC_Lm4ESE_iEESI_SC_Lm5ESE_iEESJ_PSD_iiiiiiiii
    .private_segment_fixed_size: 0
    .sgpr_count:     78
    .sgpr_spill_count: 0
    .symbol:         _ZN2at6native12_GLOBAL__N_128conv_depthwise3d_cuda_kernelIN3c108BFloat16EfLin1ELin1ELin1ELin1ELin1ELin1EEEvN5torch10headeronly6detail27GenericPackedTensorAccessorINS7_14TensorAccessorINS3_8ArrayRefIlEEKT_Lm4ENS6_16DefaultPtrTraitsEiEENS_6detail16IndexBoundsCheckILm5EiEESD_Lm5ESE_iEENS8_INS9_ISB_SC_Lm4ESE_iEESI_SC_Lm5ESE_iEESJ_PSD_iiiiiiiii.kd
    .uniform_work_group_size: 1
    .uses_dynamic_stack: false
    .vgpr_count:     25
    .vgpr_spill_count: 0
    .wavefront_size: 32
    .workgroup_processor_mode: 1
  - .args:
      - .offset:         0
        .size:           48
        .value_kind:     by_value
      - .offset:         48
        .size:           48
        .value_kind:     by_value
      - .offset:         96
        .size:           48
        .value_kind:     by_value
      - .offset:         144
        .size:           4
        .value_kind:     by_value
      - .offset:         148
        .size:           4
        .value_kind:     by_value
      - .offset:         152
        .size:           4
        .value_kind:     by_value
      - .offset:         156
        .size:           4
        .value_kind:     by_value
      - .offset:         160
        .size:           4
        .value_kind:     by_value
      - .offset:         164
        .size:           4
        .value_kind:     by_value
      - .offset:         168
        .size:           4
        .value_kind:     by_value
      - .offset:         172
        .size:           4
        .value_kind:     by_value
      - .offset:         176
        .size:           4
        .value_kind:     by_value
      - .offset:         184
        .size:           4
        .value_kind:     hidden_block_count_x
      - .offset:         188
        .size:           4
        .value_kind:     hidden_block_count_y
      - .offset:         192
        .size:           4
        .value_kind:     hidden_block_count_z
      - .offset:         196
        .size:           2
        .value_kind:     hidden_group_size_x
      - .offset:         198
        .size:           2
        .value_kind:     hidden_group_size_y
      - .offset:         200
        .size:           2
        .value_kind:     hidden_group_size_z
      - .offset:         202
        .size:           2
        .value_kind:     hidden_remainder_x
      - .offset:         204
        .size:           2
        .value_kind:     hidden_remainder_y
      - .offset:         206
        .size:           2
        .value_kind:     hidden_remainder_z
      - .offset:         224
        .size:           8
        .value_kind:     hidden_global_offset_x
      - .offset:         232
        .size:           8
        .value_kind:     hidden_global_offset_y
      - .offset:         240
        .size:           8
        .value_kind:     hidden_global_offset_z
      - .offset:         248
        .size:           2
        .value_kind:     hidden_grid_dims
    .group_segment_fixed_size: 0
    .kernarg_segment_align: 8
    .kernarg_segment_size: 440
    .language:       OpenCL C
    .language_version:
      - 2
      - 0
    .max_flat_workgroup_size: 1024
    .name:           _ZN2at6native12_GLOBAL__N_143conv_depthwise3d_cuda_backward_input_kernelIddLi3ELi3ELi3ELi1ELi1ELi1ELi1ELi1ELi1EEEvN5torch10headeronly6detail27GenericPackedTensorAccessorINS5_14TensorAccessorIN3c108ArrayRefIlEEKT_Lm4ENS4_16DefaultPtrTraitsEiEENS_6detail16IndexBoundsCheckILm5EiEESC_Lm5ESD_iEENS6_INS7_ISA_SB_Lm4ESD_iEESH_SB_Lm5ESD_iEESI_iiiiiiiii
    .private_segment_fixed_size: 0
    .sgpr_count:     75
    .sgpr_spill_count: 0
    .symbol:         _ZN2at6native12_GLOBAL__N_143conv_depthwise3d_cuda_backward_input_kernelIddLi3ELi3ELi3ELi1ELi1ELi1ELi1ELi1ELi1EEEvN5torch10headeronly6detail27GenericPackedTensorAccessorINS5_14TensorAccessorIN3c108ArrayRefIlEEKT_Lm4ENS4_16DefaultPtrTraitsEiEENS_6detail16IndexBoundsCheckILm5EiEESC_Lm5ESD_iEENS6_INS7_ISA_SB_Lm4ESD_iEESH_SB_Lm5ESD_iEESI_iiiiiiiii.kd
    .uniform_work_group_size: 1
    .uses_dynamic_stack: false
    .vgpr_count:     180
    .vgpr_spill_count: 0
    .wavefront_size: 32
    .workgroup_processor_mode: 1
  - .args:
      - .offset:         0
        .size:           48
        .value_kind:     by_value
      - .offset:         48
        .size:           48
        .value_kind:     by_value
      - .offset:         96
        .size:           48
        .value_kind:     by_value
      - .offset:         144
        .size:           4
        .value_kind:     by_value
      - .offset:         148
        .size:           4
        .value_kind:     by_value
      - .offset:         152
        .size:           4
        .value_kind:     by_value
      - .offset:         156
        .size:           4
        .value_kind:     by_value
      - .offset:         160
        .size:           4
        .value_kind:     by_value
      - .offset:         164
        .size:           4
        .value_kind:     by_value
      - .offset:         168
        .size:           4
        .value_kind:     by_value
      - .offset:         172
        .size:           4
        .value_kind:     by_value
      - .offset:         176
        .size:           4
        .value_kind:     by_value
      - .offset:         184
        .size:           4
        .value_kind:     hidden_block_count_x
      - .offset:         188
        .size:           4
        .value_kind:     hidden_block_count_y
      - .offset:         192
        .size:           4
        .value_kind:     hidden_block_count_z
      - .offset:         196
        .size:           2
        .value_kind:     hidden_group_size_x
      - .offset:         198
        .size:           2
        .value_kind:     hidden_group_size_y
      - .offset:         200
        .size:           2
        .value_kind:     hidden_group_size_z
      - .offset:         202
        .size:           2
        .value_kind:     hidden_remainder_x
      - .offset:         204
        .size:           2
        .value_kind:     hidden_remainder_y
      - .offset:         206
        .size:           2
        .value_kind:     hidden_remainder_z
      - .offset:         224
        .size:           8
        .value_kind:     hidden_global_offset_x
      - .offset:         232
        .size:           8
        .value_kind:     hidden_global_offset_y
      - .offset:         240
        .size:           8
        .value_kind:     hidden_global_offset_z
      - .offset:         248
        .size:           2
        .value_kind:     hidden_grid_dims
    .group_segment_fixed_size: 0
    .kernarg_segment_align: 8
    .kernarg_segment_size: 440
    .language:       OpenCL C
    .language_version:
      - 2
      - 0
    .max_flat_workgroup_size: 1024
    .name:           _ZN2at6native12_GLOBAL__N_143conv_depthwise3d_cuda_backward_input_kernelIddLi3ELi3ELi3ELi1ELi1ELi1ELin1ELin1ELin1EEEvN5torch10headeronly6detail27GenericPackedTensorAccessorINS5_14TensorAccessorIN3c108ArrayRefIlEEKT_Lm4ENS4_16DefaultPtrTraitsEiEENS_6detail16IndexBoundsCheckILm5EiEESC_Lm5ESD_iEENS6_INS7_ISA_SB_Lm4ESD_iEESH_SB_Lm5ESD_iEESI_iiiiiiiii
    .private_segment_fixed_size: 0
    .sgpr_count:     107
    .sgpr_spill_count: 13
    .symbol:         _ZN2at6native12_GLOBAL__N_143conv_depthwise3d_cuda_backward_input_kernelIddLi3ELi3ELi3ELi1ELi1ELi1ELin1ELin1ELin1EEEvN5torch10headeronly6detail27GenericPackedTensorAccessorINS5_14TensorAccessorIN3c108ArrayRefIlEEKT_Lm4ENS4_16DefaultPtrTraitsEiEENS_6detail16IndexBoundsCheckILm5EiEESC_Lm5ESD_iEENS6_INS7_ISA_SB_Lm4ESD_iEESH_SB_Lm5ESD_iEESI_iiiiiiiii.kd
    .uniform_work_group_size: 1
    .uses_dynamic_stack: false
    .vgpr_count:     181
    .vgpr_spill_count: 0
    .wavefront_size: 32
    .workgroup_processor_mode: 1
  - .args:
      - .offset:         0
        .size:           48
        .value_kind:     by_value
      - .offset:         48
        .size:           48
        .value_kind:     by_value
      - .offset:         96
        .size:           48
        .value_kind:     by_value
      - .offset:         144
        .size:           4
        .value_kind:     by_value
      - .offset:         148
        .size:           4
        .value_kind:     by_value
      - .offset:         152
        .size:           4
        .value_kind:     by_value
      - .offset:         156
        .size:           4
        .value_kind:     by_value
      - .offset:         160
        .size:           4
        .value_kind:     by_value
      - .offset:         164
        .size:           4
        .value_kind:     by_value
      - .offset:         168
        .size:           4
        .value_kind:     by_value
      - .offset:         172
        .size:           4
        .value_kind:     by_value
      - .offset:         176
        .size:           4
        .value_kind:     by_value
      - .offset:         184
        .size:           4
        .value_kind:     hidden_block_count_x
      - .offset:         188
        .size:           4
        .value_kind:     hidden_block_count_y
      - .offset:         192
        .size:           4
        .value_kind:     hidden_block_count_z
      - .offset:         196
        .size:           2
        .value_kind:     hidden_group_size_x
      - .offset:         198
        .size:           2
        .value_kind:     hidden_group_size_y
      - .offset:         200
        .size:           2
        .value_kind:     hidden_group_size_z
      - .offset:         202
        .size:           2
        .value_kind:     hidden_remainder_x
      - .offset:         204
        .size:           2
        .value_kind:     hidden_remainder_y
      - .offset:         206
        .size:           2
        .value_kind:     hidden_remainder_z
      - .offset:         224
        .size:           8
        .value_kind:     hidden_global_offset_x
      - .offset:         232
        .size:           8
        .value_kind:     hidden_global_offset_y
      - .offset:         240
        .size:           8
        .value_kind:     hidden_global_offset_z
      - .offset:         248
        .size:           2
        .value_kind:     hidden_grid_dims
    .group_segment_fixed_size: 0
    .kernarg_segment_align: 8
    .kernarg_segment_size: 440
    .language:       OpenCL C
    .language_version:
      - 2
      - 0
    .max_flat_workgroup_size: 1024
    .name:           _ZN2at6native12_GLOBAL__N_143conv_depthwise3d_cuda_backward_input_kernelIddLi3ELi3ELi3ELin1ELin1ELin1ELi1ELi1ELi1EEEvN5torch10headeronly6detail27GenericPackedTensorAccessorINS5_14TensorAccessorIN3c108ArrayRefIlEEKT_Lm4ENS4_16DefaultPtrTraitsEiEENS_6detail16IndexBoundsCheckILm5EiEESC_Lm5ESD_iEENS6_INS7_ISA_SB_Lm4ESD_iEESH_SB_Lm5ESD_iEESI_iiiiiiiii
    .private_segment_fixed_size: 0
    .sgpr_count:     81
    .sgpr_spill_count: 0
    .symbol:         _ZN2at6native12_GLOBAL__N_143conv_depthwise3d_cuda_backward_input_kernelIddLi3ELi3ELi3ELin1ELin1ELin1ELi1ELi1ELi1EEEvN5torch10headeronly6detail27GenericPackedTensorAccessorINS5_14TensorAccessorIN3c108ArrayRefIlEEKT_Lm4ENS4_16DefaultPtrTraitsEiEENS_6detail16IndexBoundsCheckILm5EiEESC_Lm5ESD_iEENS6_INS7_ISA_SB_Lm4ESD_iEESH_SB_Lm5ESD_iEESI_iiiiiiiii.kd
    .uniform_work_group_size: 1
    .uses_dynamic_stack: false
    .vgpr_count:     180
    .vgpr_spill_count: 0
    .wavefront_size: 32
    .workgroup_processor_mode: 1
  - .args:
      - .offset:         0
        .size:           48
        .value_kind:     by_value
      - .offset:         48
        .size:           48
        .value_kind:     by_value
      - .offset:         96
        .size:           48
        .value_kind:     by_value
      - .offset:         144
        .size:           4
        .value_kind:     by_value
      - .offset:         148
        .size:           4
        .value_kind:     by_value
      - .offset:         152
        .size:           4
        .value_kind:     by_value
      - .offset:         156
        .size:           4
        .value_kind:     by_value
      - .offset:         160
        .size:           4
        .value_kind:     by_value
      - .offset:         164
        .size:           4
        .value_kind:     by_value
      - .offset:         168
        .size:           4
        .value_kind:     by_value
      - .offset:         172
        .size:           4
        .value_kind:     by_value
      - .offset:         176
        .size:           4
        .value_kind:     by_value
      - .offset:         184
        .size:           4
        .value_kind:     hidden_block_count_x
      - .offset:         188
        .size:           4
        .value_kind:     hidden_block_count_y
      - .offset:         192
        .size:           4
        .value_kind:     hidden_block_count_z
      - .offset:         196
        .size:           2
        .value_kind:     hidden_group_size_x
      - .offset:         198
        .size:           2
        .value_kind:     hidden_group_size_y
      - .offset:         200
        .size:           2
        .value_kind:     hidden_group_size_z
      - .offset:         202
        .size:           2
        .value_kind:     hidden_remainder_x
      - .offset:         204
        .size:           2
        .value_kind:     hidden_remainder_y
      - .offset:         206
        .size:           2
        .value_kind:     hidden_remainder_z
      - .offset:         224
        .size:           8
        .value_kind:     hidden_global_offset_x
      - .offset:         232
        .size:           8
        .value_kind:     hidden_global_offset_y
      - .offset:         240
        .size:           8
        .value_kind:     hidden_global_offset_z
      - .offset:         248
        .size:           2
        .value_kind:     hidden_grid_dims
    .group_segment_fixed_size: 0
    .kernarg_segment_align: 8
    .kernarg_segment_size: 440
    .language:       OpenCL C
    .language_version:
      - 2
      - 0
    .max_flat_workgroup_size: 1024
    .name:           _ZN2at6native12_GLOBAL__N_143conv_depthwise3d_cuda_backward_input_kernelIddLi3ELi3ELi3ELin1ELin1ELin1ELin1ELin1ELin1EEEvN5torch10headeronly6detail27GenericPackedTensorAccessorINS5_14TensorAccessorIN3c108ArrayRefIlEEKT_Lm4ENS4_16DefaultPtrTraitsEiEENS_6detail16IndexBoundsCheckILm5EiEESC_Lm5ESD_iEENS6_INS7_ISA_SB_Lm4ESD_iEESH_SB_Lm5ESD_iEESI_iiiiiiiii
    .private_segment_fixed_size: 0
    .sgpr_count:     107
    .sgpr_spill_count: 18
    .symbol:         _ZN2at6native12_GLOBAL__N_143conv_depthwise3d_cuda_backward_input_kernelIddLi3ELi3ELi3ELin1ELin1ELin1ELin1ELin1ELin1EEEvN5torch10headeronly6detail27GenericPackedTensorAccessorINS5_14TensorAccessorIN3c108ArrayRefIlEEKT_Lm4ENS4_16DefaultPtrTraitsEiEENS_6detail16IndexBoundsCheckILm5EiEESC_Lm5ESD_iEENS6_INS7_ISA_SB_Lm4ESD_iEESH_SB_Lm5ESD_iEESI_iiiiiiiii.kd
    .uniform_work_group_size: 1
    .uses_dynamic_stack: false
    .vgpr_count:     181
    .vgpr_spill_count: 0
    .wavefront_size: 32
    .workgroup_processor_mode: 1
  - .args:
      - .offset:         0
        .size:           48
        .value_kind:     by_value
      - .offset:         48
        .size:           48
        .value_kind:     by_value
      - .offset:         96
        .size:           48
        .value_kind:     by_value
      - .offset:         144
        .size:           4
        .value_kind:     by_value
      - .offset:         148
        .size:           4
        .value_kind:     by_value
      - .offset:         152
        .size:           4
        .value_kind:     by_value
      - .offset:         156
        .size:           4
        .value_kind:     by_value
      - .offset:         160
        .size:           4
        .value_kind:     by_value
      - .offset:         164
        .size:           4
        .value_kind:     by_value
      - .offset:         168
        .size:           4
        .value_kind:     by_value
      - .offset:         172
        .size:           4
        .value_kind:     by_value
      - .offset:         176
        .size:           4
        .value_kind:     by_value
      - .offset:         184
        .size:           4
        .value_kind:     hidden_block_count_x
      - .offset:         188
        .size:           4
        .value_kind:     hidden_block_count_y
      - .offset:         192
        .size:           4
        .value_kind:     hidden_block_count_z
      - .offset:         196
        .size:           2
        .value_kind:     hidden_group_size_x
      - .offset:         198
        .size:           2
        .value_kind:     hidden_group_size_y
      - .offset:         200
        .size:           2
        .value_kind:     hidden_group_size_z
      - .offset:         202
        .size:           2
        .value_kind:     hidden_remainder_x
      - .offset:         204
        .size:           2
        .value_kind:     hidden_remainder_y
      - .offset:         206
        .size:           2
        .value_kind:     hidden_remainder_z
      - .offset:         224
        .size:           8
        .value_kind:     hidden_global_offset_x
      - .offset:         232
        .size:           8
        .value_kind:     hidden_global_offset_y
      - .offset:         240
        .size:           8
        .value_kind:     hidden_global_offset_z
      - .offset:         248
        .size:           2
        .value_kind:     hidden_grid_dims
    .group_segment_fixed_size: 0
    .kernarg_segment_align: 8
    .kernarg_segment_size: 440
    .language:       OpenCL C
    .language_version:
      - 2
      - 0
    .max_flat_workgroup_size: 1024
    .name:           _ZN2at6native12_GLOBAL__N_143conv_depthwise3d_cuda_backward_input_kernelIddLin1ELin1ELin1ELin1ELin1ELin1ELin1ELin1ELin1EEEvN5torch10headeronly6detail27GenericPackedTensorAccessorINS5_14TensorAccessorIN3c108ArrayRefIlEEKT_Lm4ENS4_16DefaultPtrTraitsEiEENS_6detail16IndexBoundsCheckILm5EiEESC_Lm5ESD_iEENS6_INS7_ISA_SB_Lm4ESD_iEESH_SB_Lm5ESD_iEESI_iiiiiiiii
    .private_segment_fixed_size: 0
    .sgpr_count:     77
    .sgpr_spill_count: 0
    .symbol:         _ZN2at6native12_GLOBAL__N_143conv_depthwise3d_cuda_backward_input_kernelIddLin1ELin1ELin1ELin1ELin1ELin1ELin1ELin1ELin1EEEvN5torch10headeronly6detail27GenericPackedTensorAccessorINS5_14TensorAccessorIN3c108ArrayRefIlEEKT_Lm4ENS4_16DefaultPtrTraitsEiEENS_6detail16IndexBoundsCheckILm5EiEESC_Lm5ESD_iEENS6_INS7_ISA_SB_Lm4ESD_iEESH_SB_Lm5ESD_iEESI_iiiiiiiii.kd
    .uniform_work_group_size: 1
    .uses_dynamic_stack: false
    .vgpr_count:     29
    .vgpr_spill_count: 0
    .wavefront_size: 32
    .workgroup_processor_mode: 1
  - .args:
      - .offset:         0
        .size:           48
        .value_kind:     by_value
      - .offset:         48
        .size:           48
        .value_kind:     by_value
      - .offset:         96
        .size:           48
        .value_kind:     by_value
      - .offset:         144
        .size:           4
        .value_kind:     by_value
      - .offset:         148
        .size:           4
        .value_kind:     by_value
      - .offset:         152
        .size:           4
        .value_kind:     by_value
      - .offset:         156
        .size:           4
        .value_kind:     by_value
      - .offset:         160
        .size:           4
        .value_kind:     by_value
      - .offset:         164
        .size:           4
        .value_kind:     by_value
      - .offset:         168
        .size:           4
        .value_kind:     by_value
      - .offset:         172
        .size:           4
        .value_kind:     by_value
      - .offset:         176
        .size:           4
        .value_kind:     by_value
      - .offset:         184
        .size:           4
        .value_kind:     hidden_block_count_x
      - .offset:         188
        .size:           4
        .value_kind:     hidden_block_count_y
      - .offset:         192
        .size:           4
        .value_kind:     hidden_block_count_z
      - .offset:         196
        .size:           2
        .value_kind:     hidden_group_size_x
      - .offset:         198
        .size:           2
        .value_kind:     hidden_group_size_y
      - .offset:         200
        .size:           2
        .value_kind:     hidden_group_size_z
      - .offset:         202
        .size:           2
        .value_kind:     hidden_remainder_x
      - .offset:         204
        .size:           2
        .value_kind:     hidden_remainder_y
      - .offset:         206
        .size:           2
        .value_kind:     hidden_remainder_z
      - .offset:         224
        .size:           8
        .value_kind:     hidden_global_offset_x
      - .offset:         232
        .size:           8
        .value_kind:     hidden_global_offset_y
      - .offset:         240
        .size:           8
        .value_kind:     hidden_global_offset_z
      - .offset:         248
        .size:           2
        .value_kind:     hidden_grid_dims
    .group_segment_fixed_size: 0
    .kernarg_segment_align: 8
    .kernarg_segment_size: 440
    .language:       OpenCL C
    .language_version:
      - 2
      - 0
    .max_flat_workgroup_size: 1024
    .name:           _ZN2at6native12_GLOBAL__N_143conv_depthwise3d_cuda_backward_input_kernelIffLi3ELi3ELi3ELi1ELi1ELi1ELi1ELi1ELi1EEEvN5torch10headeronly6detail27GenericPackedTensorAccessorINS5_14TensorAccessorIN3c108ArrayRefIlEEKT_Lm4ENS4_16DefaultPtrTraitsEiEENS_6detail16IndexBoundsCheckILm5EiEESC_Lm5ESD_iEENS6_INS7_ISA_SB_Lm4ESD_iEESH_SB_Lm5ESD_iEESI_iiiiiiiii
    .private_segment_fixed_size: 0
    .sgpr_count:     75
    .sgpr_spill_count: 0
    .symbol:         _ZN2at6native12_GLOBAL__N_143conv_depthwise3d_cuda_backward_input_kernelIffLi3ELi3ELi3ELi1ELi1ELi1ELi1ELi1ELi1EEEvN5torch10headeronly6detail27GenericPackedTensorAccessorINS5_14TensorAccessorIN3c108ArrayRefIlEEKT_Lm4ENS4_16DefaultPtrTraitsEiEENS_6detail16IndexBoundsCheckILm5EiEESC_Lm5ESD_iEENS6_INS7_ISA_SB_Lm4ESD_iEESH_SB_Lm5ESD_iEESI_iiiiiiiii.kd
    .uniform_work_group_size: 1
    .uses_dynamic_stack: false
    .vgpr_count:     125
    .vgpr_spill_count: 0
    .wavefront_size: 32
    .workgroup_processor_mode: 1
  - .args:
      - .offset:         0
        .size:           48
        .value_kind:     by_value
      - .offset:         48
        .size:           48
        .value_kind:     by_value
      - .offset:         96
        .size:           48
        .value_kind:     by_value
      - .offset:         144
        .size:           4
        .value_kind:     by_value
      - .offset:         148
        .size:           4
        .value_kind:     by_value
      - .offset:         152
        .size:           4
        .value_kind:     by_value
      - .offset:         156
        .size:           4
        .value_kind:     by_value
      - .offset:         160
        .size:           4
        .value_kind:     by_value
      - .offset:         164
        .size:           4
        .value_kind:     by_value
      - .offset:         168
        .size:           4
        .value_kind:     by_value
      - .offset:         172
        .size:           4
        .value_kind:     by_value
      - .offset:         176
        .size:           4
        .value_kind:     by_value
      - .offset:         184
        .size:           4
        .value_kind:     hidden_block_count_x
      - .offset:         188
        .size:           4
        .value_kind:     hidden_block_count_y
      - .offset:         192
        .size:           4
        .value_kind:     hidden_block_count_z
      - .offset:         196
        .size:           2
        .value_kind:     hidden_group_size_x
      - .offset:         198
        .size:           2
        .value_kind:     hidden_group_size_y
      - .offset:         200
        .size:           2
        .value_kind:     hidden_group_size_z
      - .offset:         202
        .size:           2
        .value_kind:     hidden_remainder_x
      - .offset:         204
        .size:           2
        .value_kind:     hidden_remainder_y
      - .offset:         206
        .size:           2
        .value_kind:     hidden_remainder_z
      - .offset:         224
        .size:           8
        .value_kind:     hidden_global_offset_x
      - .offset:         232
        .size:           8
        .value_kind:     hidden_global_offset_y
      - .offset:         240
        .size:           8
        .value_kind:     hidden_global_offset_z
      - .offset:         248
        .size:           2
        .value_kind:     hidden_grid_dims
    .group_segment_fixed_size: 0
    .kernarg_segment_align: 8
    .kernarg_segment_size: 440
    .language:       OpenCL C
    .language_version:
      - 2
      - 0
    .max_flat_workgroup_size: 1024
    .name:           _ZN2at6native12_GLOBAL__N_143conv_depthwise3d_cuda_backward_input_kernelIffLi3ELi3ELi3ELi1ELi1ELi1ELin1ELin1ELin1EEEvN5torch10headeronly6detail27GenericPackedTensorAccessorINS5_14TensorAccessorIN3c108ArrayRefIlEEKT_Lm4ENS4_16DefaultPtrTraitsEiEENS_6detail16IndexBoundsCheckILm5EiEESC_Lm5ESD_iEENS6_INS7_ISA_SB_Lm4ESD_iEESH_SB_Lm5ESD_iEESI_iiiiiiiii
    .private_segment_fixed_size: 0
    .sgpr_count:     107
    .sgpr_spill_count: 13
    .symbol:         _ZN2at6native12_GLOBAL__N_143conv_depthwise3d_cuda_backward_input_kernelIffLi3ELi3ELi3ELi1ELi1ELi1ELin1ELin1ELin1EEEvN5torch10headeronly6detail27GenericPackedTensorAccessorINS5_14TensorAccessorIN3c108ArrayRefIlEEKT_Lm4ENS4_16DefaultPtrTraitsEiEENS_6detail16IndexBoundsCheckILm5EiEESC_Lm5ESD_iEENS6_INS7_ISA_SB_Lm4ESD_iEESH_SB_Lm5ESD_iEESI_iiiiiiiii.kd
    .uniform_work_group_size: 1
    .uses_dynamic_stack: false
    .vgpr_count:     126
    .vgpr_spill_count: 0
    .wavefront_size: 32
    .workgroup_processor_mode: 1
  - .args:
      - .offset:         0
        .size:           48
        .value_kind:     by_value
      - .offset:         48
        .size:           48
        .value_kind:     by_value
      - .offset:         96
        .size:           48
        .value_kind:     by_value
      - .offset:         144
        .size:           4
        .value_kind:     by_value
      - .offset:         148
        .size:           4
        .value_kind:     by_value
      - .offset:         152
        .size:           4
        .value_kind:     by_value
      - .offset:         156
        .size:           4
        .value_kind:     by_value
      - .offset:         160
        .size:           4
        .value_kind:     by_value
      - .offset:         164
        .size:           4
        .value_kind:     by_value
      - .offset:         168
        .size:           4
        .value_kind:     by_value
      - .offset:         172
        .size:           4
        .value_kind:     by_value
      - .offset:         176
        .size:           4
        .value_kind:     by_value
      - .offset:         184
        .size:           4
        .value_kind:     hidden_block_count_x
      - .offset:         188
        .size:           4
        .value_kind:     hidden_block_count_y
      - .offset:         192
        .size:           4
        .value_kind:     hidden_block_count_z
      - .offset:         196
        .size:           2
        .value_kind:     hidden_group_size_x
      - .offset:         198
        .size:           2
        .value_kind:     hidden_group_size_y
      - .offset:         200
        .size:           2
        .value_kind:     hidden_group_size_z
      - .offset:         202
        .size:           2
        .value_kind:     hidden_remainder_x
      - .offset:         204
        .size:           2
        .value_kind:     hidden_remainder_y
      - .offset:         206
        .size:           2
        .value_kind:     hidden_remainder_z
      - .offset:         224
        .size:           8
        .value_kind:     hidden_global_offset_x
      - .offset:         232
        .size:           8
        .value_kind:     hidden_global_offset_y
      - .offset:         240
        .size:           8
        .value_kind:     hidden_global_offset_z
      - .offset:         248
        .size:           2
        .value_kind:     hidden_grid_dims
    .group_segment_fixed_size: 0
    .kernarg_segment_align: 8
    .kernarg_segment_size: 440
    .language:       OpenCL C
    .language_version:
      - 2
      - 0
    .max_flat_workgroup_size: 1024
    .name:           _ZN2at6native12_GLOBAL__N_143conv_depthwise3d_cuda_backward_input_kernelIffLi3ELi3ELi3ELin1ELin1ELin1ELi1ELi1ELi1EEEvN5torch10headeronly6detail27GenericPackedTensorAccessorINS5_14TensorAccessorIN3c108ArrayRefIlEEKT_Lm4ENS4_16DefaultPtrTraitsEiEENS_6detail16IndexBoundsCheckILm5EiEESC_Lm5ESD_iEENS6_INS7_ISA_SB_Lm4ESD_iEESH_SB_Lm5ESD_iEESI_iiiiiiiii
    .private_segment_fixed_size: 0
    .sgpr_count:     81
    .sgpr_spill_count: 0
    .symbol:         _ZN2at6native12_GLOBAL__N_143conv_depthwise3d_cuda_backward_input_kernelIffLi3ELi3ELi3ELin1ELin1ELin1ELi1ELi1ELi1EEEvN5torch10headeronly6detail27GenericPackedTensorAccessorINS5_14TensorAccessorIN3c108ArrayRefIlEEKT_Lm4ENS4_16DefaultPtrTraitsEiEENS_6detail16IndexBoundsCheckILm5EiEESC_Lm5ESD_iEENS6_INS7_ISA_SB_Lm4ESD_iEESH_SB_Lm5ESD_iEESI_iiiiiiiii.kd
    .uniform_work_group_size: 1
    .uses_dynamic_stack: false
    .vgpr_count:     125
    .vgpr_spill_count: 0
    .wavefront_size: 32
    .workgroup_processor_mode: 1
  - .args:
      - .offset:         0
        .size:           48
        .value_kind:     by_value
      - .offset:         48
        .size:           48
        .value_kind:     by_value
      - .offset:         96
        .size:           48
        .value_kind:     by_value
      - .offset:         144
        .size:           4
        .value_kind:     by_value
      - .offset:         148
        .size:           4
        .value_kind:     by_value
      - .offset:         152
        .size:           4
        .value_kind:     by_value
      - .offset:         156
        .size:           4
        .value_kind:     by_value
      - .offset:         160
        .size:           4
        .value_kind:     by_value
      - .offset:         164
        .size:           4
        .value_kind:     by_value
      - .offset:         168
        .size:           4
        .value_kind:     by_value
      - .offset:         172
        .size:           4
        .value_kind:     by_value
      - .offset:         176
        .size:           4
        .value_kind:     by_value
      - .offset:         184
        .size:           4
        .value_kind:     hidden_block_count_x
      - .offset:         188
        .size:           4
        .value_kind:     hidden_block_count_y
      - .offset:         192
        .size:           4
        .value_kind:     hidden_block_count_z
      - .offset:         196
        .size:           2
        .value_kind:     hidden_group_size_x
      - .offset:         198
        .size:           2
        .value_kind:     hidden_group_size_y
      - .offset:         200
        .size:           2
        .value_kind:     hidden_group_size_z
      - .offset:         202
        .size:           2
        .value_kind:     hidden_remainder_x
      - .offset:         204
        .size:           2
        .value_kind:     hidden_remainder_y
      - .offset:         206
        .size:           2
        .value_kind:     hidden_remainder_z
      - .offset:         224
        .size:           8
        .value_kind:     hidden_global_offset_x
      - .offset:         232
        .size:           8
        .value_kind:     hidden_global_offset_y
      - .offset:         240
        .size:           8
        .value_kind:     hidden_global_offset_z
      - .offset:         248
        .size:           2
        .value_kind:     hidden_grid_dims
    .group_segment_fixed_size: 0
    .kernarg_segment_align: 8
    .kernarg_segment_size: 440
    .language:       OpenCL C
    .language_version:
      - 2
      - 0
    .max_flat_workgroup_size: 1024
    .name:           _ZN2at6native12_GLOBAL__N_143conv_depthwise3d_cuda_backward_input_kernelIffLi3ELi3ELi3ELin1ELin1ELin1ELin1ELin1ELin1EEEvN5torch10headeronly6detail27GenericPackedTensorAccessorINS5_14TensorAccessorIN3c108ArrayRefIlEEKT_Lm4ENS4_16DefaultPtrTraitsEiEENS_6detail16IndexBoundsCheckILm5EiEESC_Lm5ESD_iEENS6_INS7_ISA_SB_Lm4ESD_iEESH_SB_Lm5ESD_iEESI_iiiiiiiii
    .private_segment_fixed_size: 0
    .sgpr_count:     107
    .sgpr_spill_count: 18
    .symbol:         _ZN2at6native12_GLOBAL__N_143conv_depthwise3d_cuda_backward_input_kernelIffLi3ELi3ELi3ELin1ELin1ELin1ELin1ELin1ELin1EEEvN5torch10headeronly6detail27GenericPackedTensorAccessorINS5_14TensorAccessorIN3c108ArrayRefIlEEKT_Lm4ENS4_16DefaultPtrTraitsEiEENS_6detail16IndexBoundsCheckILm5EiEESC_Lm5ESD_iEENS6_INS7_ISA_SB_Lm4ESD_iEESH_SB_Lm5ESD_iEESI_iiiiiiiii.kd
    .uniform_work_group_size: 1
    .uses_dynamic_stack: false
    .vgpr_count:     126
    .vgpr_spill_count: 0
    .wavefront_size: 32
    .workgroup_processor_mode: 1
  - .args:
      - .offset:         0
        .size:           48
        .value_kind:     by_value
      - .offset:         48
        .size:           48
        .value_kind:     by_value
      - .offset:         96
        .size:           48
        .value_kind:     by_value
      - .offset:         144
        .size:           4
        .value_kind:     by_value
      - .offset:         148
        .size:           4
        .value_kind:     by_value
      - .offset:         152
        .size:           4
        .value_kind:     by_value
      - .offset:         156
        .size:           4
        .value_kind:     by_value
      - .offset:         160
        .size:           4
        .value_kind:     by_value
      - .offset:         164
        .size:           4
        .value_kind:     by_value
      - .offset:         168
        .size:           4
        .value_kind:     by_value
      - .offset:         172
        .size:           4
        .value_kind:     by_value
      - .offset:         176
        .size:           4
        .value_kind:     by_value
      - .offset:         184
        .size:           4
        .value_kind:     hidden_block_count_x
      - .offset:         188
        .size:           4
        .value_kind:     hidden_block_count_y
      - .offset:         192
        .size:           4
        .value_kind:     hidden_block_count_z
      - .offset:         196
        .size:           2
        .value_kind:     hidden_group_size_x
      - .offset:         198
        .size:           2
        .value_kind:     hidden_group_size_y
      - .offset:         200
        .size:           2
        .value_kind:     hidden_group_size_z
      - .offset:         202
        .size:           2
        .value_kind:     hidden_remainder_x
      - .offset:         204
        .size:           2
        .value_kind:     hidden_remainder_y
      - .offset:         206
        .size:           2
        .value_kind:     hidden_remainder_z
      - .offset:         224
        .size:           8
        .value_kind:     hidden_global_offset_x
      - .offset:         232
        .size:           8
        .value_kind:     hidden_global_offset_y
      - .offset:         240
        .size:           8
        .value_kind:     hidden_global_offset_z
      - .offset:         248
        .size:           2
        .value_kind:     hidden_grid_dims
    .group_segment_fixed_size: 0
    .kernarg_segment_align: 8
    .kernarg_segment_size: 440
    .language:       OpenCL C
    .language_version:
      - 2
      - 0
    .max_flat_workgroup_size: 1024
    .name:           _ZN2at6native12_GLOBAL__N_143conv_depthwise3d_cuda_backward_input_kernelIffLin1ELin1ELin1ELin1ELin1ELin1ELin1ELin1ELin1EEEvN5torch10headeronly6detail27GenericPackedTensorAccessorINS5_14TensorAccessorIN3c108ArrayRefIlEEKT_Lm4ENS4_16DefaultPtrTraitsEiEENS_6detail16IndexBoundsCheckILm5EiEESC_Lm5ESD_iEENS6_INS7_ISA_SB_Lm4ESD_iEESH_SB_Lm5ESD_iEESI_iiiiiiiii
    .private_segment_fixed_size: 0
    .sgpr_count:     77
    .sgpr_spill_count: 0
    .symbol:         _ZN2at6native12_GLOBAL__N_143conv_depthwise3d_cuda_backward_input_kernelIffLin1ELin1ELin1ELin1ELin1ELin1ELin1ELin1ELin1EEEvN5torch10headeronly6detail27GenericPackedTensorAccessorINS5_14TensorAccessorIN3c108ArrayRefIlEEKT_Lm4ENS4_16DefaultPtrTraitsEiEENS_6detail16IndexBoundsCheckILm5EiEESC_Lm5ESD_iEENS6_INS7_ISA_SB_Lm4ESD_iEESH_SB_Lm5ESD_iEESI_iiiiiiiii.kd
    .uniform_work_group_size: 1
    .uses_dynamic_stack: false
    .vgpr_count:     27
    .vgpr_spill_count: 0
    .wavefront_size: 32
    .workgroup_processor_mode: 1
  - .args:
      - .offset:         0
        .size:           48
        .value_kind:     by_value
      - .offset:         48
        .size:           48
        .value_kind:     by_value
      - .offset:         96
        .size:           48
        .value_kind:     by_value
      - .offset:         144
        .size:           4
        .value_kind:     by_value
      - .offset:         148
        .size:           4
        .value_kind:     by_value
      - .offset:         152
        .size:           4
        .value_kind:     by_value
      - .offset:         156
        .size:           4
        .value_kind:     by_value
      - .offset:         160
        .size:           4
        .value_kind:     by_value
      - .offset:         164
        .size:           4
        .value_kind:     by_value
      - .offset:         168
        .size:           4
        .value_kind:     by_value
      - .offset:         172
        .size:           4
        .value_kind:     by_value
      - .offset:         176
        .size:           4
        .value_kind:     by_value
      - .offset:         184
        .size:           4
        .value_kind:     hidden_block_count_x
      - .offset:         188
        .size:           4
        .value_kind:     hidden_block_count_y
      - .offset:         192
        .size:           4
        .value_kind:     hidden_block_count_z
      - .offset:         196
        .size:           2
        .value_kind:     hidden_group_size_x
      - .offset:         198
        .size:           2
        .value_kind:     hidden_group_size_y
      - .offset:         200
        .size:           2
        .value_kind:     hidden_group_size_z
      - .offset:         202
        .size:           2
        .value_kind:     hidden_remainder_x
      - .offset:         204
        .size:           2
        .value_kind:     hidden_remainder_y
      - .offset:         206
        .size:           2
        .value_kind:     hidden_remainder_z
      - .offset:         224
        .size:           8
        .value_kind:     hidden_global_offset_x
      - .offset:         232
        .size:           8
        .value_kind:     hidden_global_offset_y
      - .offset:         240
        .size:           8
        .value_kind:     hidden_global_offset_z
      - .offset:         248
        .size:           2
        .value_kind:     hidden_grid_dims
    .group_segment_fixed_size: 0
    .kernarg_segment_align: 8
    .kernarg_segment_size: 440
    .language:       OpenCL C
    .language_version:
      - 2
      - 0
    .max_flat_workgroup_size: 1024
    .name:           _ZN2at6native12_GLOBAL__N_143conv_depthwise3d_cuda_backward_input_kernelIN3c104HalfEfLi3ELi3ELi3ELi1ELi1ELi1ELi1ELi1ELi1EEEvN5torch10headeronly6detail27GenericPackedTensorAccessorINS7_14TensorAccessorINS3_8ArrayRefIlEEKT_Lm4ENS6_16DefaultPtrTraitsEiEENS_6detail16IndexBoundsCheckILm5EiEESD_Lm5ESE_iEENS8_INS9_ISB_SC_Lm4ESE_iEESI_SC_Lm5ESE_iEESJ_iiiiiiiii
    .private_segment_fixed_size: 0
    .sgpr_count:     75
    .sgpr_spill_count: 0
    .symbol:         _ZN2at6native12_GLOBAL__N_143conv_depthwise3d_cuda_backward_input_kernelIN3c104HalfEfLi3ELi3ELi3ELi1ELi1ELi1ELi1ELi1ELi1EEEvN5torch10headeronly6detail27GenericPackedTensorAccessorINS7_14TensorAccessorINS3_8ArrayRefIlEEKT_Lm4ENS6_16DefaultPtrTraitsEiEENS_6detail16IndexBoundsCheckILm5EiEESD_Lm5ESE_iEENS8_INS9_ISB_SC_Lm4ESE_iEESI_SC_Lm5ESE_iEESJ_iiiiiiiii.kd
    .uniform_work_group_size: 1
    .uses_dynamic_stack: false
    .vgpr_count:     125
    .vgpr_spill_count: 0
    .wavefront_size: 32
    .workgroup_processor_mode: 1
  - .args:
      - .offset:         0
        .size:           48
        .value_kind:     by_value
      - .offset:         48
        .size:           48
        .value_kind:     by_value
      - .offset:         96
        .size:           48
        .value_kind:     by_value
      - .offset:         144
        .size:           4
        .value_kind:     by_value
      - .offset:         148
        .size:           4
        .value_kind:     by_value
      - .offset:         152
        .size:           4
        .value_kind:     by_value
      - .offset:         156
        .size:           4
        .value_kind:     by_value
      - .offset:         160
        .size:           4
        .value_kind:     by_value
      - .offset:         164
        .size:           4
        .value_kind:     by_value
      - .offset:         168
        .size:           4
        .value_kind:     by_value
      - .offset:         172
        .size:           4
        .value_kind:     by_value
      - .offset:         176
        .size:           4
        .value_kind:     by_value
      - .offset:         184
        .size:           4
        .value_kind:     hidden_block_count_x
      - .offset:         188
        .size:           4
        .value_kind:     hidden_block_count_y
      - .offset:         192
        .size:           4
        .value_kind:     hidden_block_count_z
      - .offset:         196
        .size:           2
        .value_kind:     hidden_group_size_x
      - .offset:         198
        .size:           2
        .value_kind:     hidden_group_size_y
      - .offset:         200
        .size:           2
        .value_kind:     hidden_group_size_z
      - .offset:         202
        .size:           2
        .value_kind:     hidden_remainder_x
      - .offset:         204
        .size:           2
        .value_kind:     hidden_remainder_y
      - .offset:         206
        .size:           2
        .value_kind:     hidden_remainder_z
      - .offset:         224
        .size:           8
        .value_kind:     hidden_global_offset_x
      - .offset:         232
        .size:           8
        .value_kind:     hidden_global_offset_y
      - .offset:         240
        .size:           8
        .value_kind:     hidden_global_offset_z
      - .offset:         248
        .size:           2
        .value_kind:     hidden_grid_dims
    .group_segment_fixed_size: 0
    .kernarg_segment_align: 8
    .kernarg_segment_size: 440
    .language:       OpenCL C
    .language_version:
      - 2
      - 0
    .max_flat_workgroup_size: 1024
    .name:           _ZN2at6native12_GLOBAL__N_143conv_depthwise3d_cuda_backward_input_kernelIN3c104HalfEfLi3ELi3ELi3ELi1ELi1ELi1ELin1ELin1ELin1EEEvN5torch10headeronly6detail27GenericPackedTensorAccessorINS7_14TensorAccessorINS3_8ArrayRefIlEEKT_Lm4ENS6_16DefaultPtrTraitsEiEENS_6detail16IndexBoundsCheckILm5EiEESD_Lm5ESE_iEENS8_INS9_ISB_SC_Lm4ESE_iEESI_SC_Lm5ESE_iEESJ_iiiiiiiii
    .private_segment_fixed_size: 0
    .sgpr_count:     107
    .sgpr_spill_count: 13
    .symbol:         _ZN2at6native12_GLOBAL__N_143conv_depthwise3d_cuda_backward_input_kernelIN3c104HalfEfLi3ELi3ELi3ELi1ELi1ELi1ELin1ELin1ELin1EEEvN5torch10headeronly6detail27GenericPackedTensorAccessorINS7_14TensorAccessorINS3_8ArrayRefIlEEKT_Lm4ENS6_16DefaultPtrTraitsEiEENS_6detail16IndexBoundsCheckILm5EiEESD_Lm5ESE_iEENS8_INS9_ISB_SC_Lm4ESE_iEESI_SC_Lm5ESE_iEESJ_iiiiiiiii.kd
    .uniform_work_group_size: 1
    .uses_dynamic_stack: false
    .vgpr_count:     126
    .vgpr_spill_count: 0
    .wavefront_size: 32
    .workgroup_processor_mode: 1
  - .args:
      - .offset:         0
        .size:           48
        .value_kind:     by_value
      - .offset:         48
        .size:           48
        .value_kind:     by_value
      - .offset:         96
        .size:           48
        .value_kind:     by_value
      - .offset:         144
        .size:           4
        .value_kind:     by_value
      - .offset:         148
        .size:           4
        .value_kind:     by_value
      - .offset:         152
        .size:           4
        .value_kind:     by_value
      - .offset:         156
        .size:           4
        .value_kind:     by_value
      - .offset:         160
        .size:           4
        .value_kind:     by_value
      - .offset:         164
        .size:           4
        .value_kind:     by_value
      - .offset:         168
        .size:           4
        .value_kind:     by_value
      - .offset:         172
        .size:           4
        .value_kind:     by_value
      - .offset:         176
        .size:           4
        .value_kind:     by_value
      - .offset:         184
        .size:           4
        .value_kind:     hidden_block_count_x
      - .offset:         188
        .size:           4
        .value_kind:     hidden_block_count_y
      - .offset:         192
        .size:           4
        .value_kind:     hidden_block_count_z
      - .offset:         196
        .size:           2
        .value_kind:     hidden_group_size_x
      - .offset:         198
        .size:           2
        .value_kind:     hidden_group_size_y
      - .offset:         200
        .size:           2
        .value_kind:     hidden_group_size_z
      - .offset:         202
        .size:           2
        .value_kind:     hidden_remainder_x
      - .offset:         204
        .size:           2
        .value_kind:     hidden_remainder_y
      - .offset:         206
        .size:           2
        .value_kind:     hidden_remainder_z
      - .offset:         224
        .size:           8
        .value_kind:     hidden_global_offset_x
      - .offset:         232
        .size:           8
        .value_kind:     hidden_global_offset_y
      - .offset:         240
        .size:           8
        .value_kind:     hidden_global_offset_z
      - .offset:         248
        .size:           2
        .value_kind:     hidden_grid_dims
    .group_segment_fixed_size: 0
    .kernarg_segment_align: 8
    .kernarg_segment_size: 440
    .language:       OpenCL C
    .language_version:
      - 2
      - 0
    .max_flat_workgroup_size: 1024
    .name:           _ZN2at6native12_GLOBAL__N_143conv_depthwise3d_cuda_backward_input_kernelIN3c104HalfEfLi3ELi3ELi3ELin1ELin1ELin1ELi1ELi1ELi1EEEvN5torch10headeronly6detail27GenericPackedTensorAccessorINS7_14TensorAccessorINS3_8ArrayRefIlEEKT_Lm4ENS6_16DefaultPtrTraitsEiEENS_6detail16IndexBoundsCheckILm5EiEESD_Lm5ESE_iEENS8_INS9_ISB_SC_Lm4ESE_iEESI_SC_Lm5ESE_iEESJ_iiiiiiiii
    .private_segment_fixed_size: 0
    .sgpr_count:     81
    .sgpr_spill_count: 0
    .symbol:         _ZN2at6native12_GLOBAL__N_143conv_depthwise3d_cuda_backward_input_kernelIN3c104HalfEfLi3ELi3ELi3ELin1ELin1ELin1ELi1ELi1ELi1EEEvN5torch10headeronly6detail27GenericPackedTensorAccessorINS7_14TensorAccessorINS3_8ArrayRefIlEEKT_Lm4ENS6_16DefaultPtrTraitsEiEENS_6detail16IndexBoundsCheckILm5EiEESD_Lm5ESE_iEENS8_INS9_ISB_SC_Lm4ESE_iEESI_SC_Lm5ESE_iEESJ_iiiiiiiii.kd
    .uniform_work_group_size: 1
    .uses_dynamic_stack: false
    .vgpr_count:     125
    .vgpr_spill_count: 0
    .wavefront_size: 32
    .workgroup_processor_mode: 1
  - .args:
      - .offset:         0
        .size:           48
        .value_kind:     by_value
      - .offset:         48
        .size:           48
        .value_kind:     by_value
      - .offset:         96
        .size:           48
        .value_kind:     by_value
      - .offset:         144
        .size:           4
        .value_kind:     by_value
      - .offset:         148
        .size:           4
        .value_kind:     by_value
      - .offset:         152
        .size:           4
        .value_kind:     by_value
      - .offset:         156
        .size:           4
        .value_kind:     by_value
      - .offset:         160
        .size:           4
        .value_kind:     by_value
      - .offset:         164
        .size:           4
        .value_kind:     by_value
      - .offset:         168
        .size:           4
        .value_kind:     by_value
      - .offset:         172
        .size:           4
        .value_kind:     by_value
      - .offset:         176
        .size:           4
        .value_kind:     by_value
      - .offset:         184
        .size:           4
        .value_kind:     hidden_block_count_x
      - .offset:         188
        .size:           4
        .value_kind:     hidden_block_count_y
      - .offset:         192
        .size:           4
        .value_kind:     hidden_block_count_z
      - .offset:         196
        .size:           2
        .value_kind:     hidden_group_size_x
      - .offset:         198
        .size:           2
        .value_kind:     hidden_group_size_y
      - .offset:         200
        .size:           2
        .value_kind:     hidden_group_size_z
      - .offset:         202
        .size:           2
        .value_kind:     hidden_remainder_x
      - .offset:         204
        .size:           2
        .value_kind:     hidden_remainder_y
      - .offset:         206
        .size:           2
        .value_kind:     hidden_remainder_z
      - .offset:         224
        .size:           8
        .value_kind:     hidden_global_offset_x
      - .offset:         232
        .size:           8
        .value_kind:     hidden_global_offset_y
      - .offset:         240
        .size:           8
        .value_kind:     hidden_global_offset_z
      - .offset:         248
        .size:           2
        .value_kind:     hidden_grid_dims
    .group_segment_fixed_size: 0
    .kernarg_segment_align: 8
    .kernarg_segment_size: 440
    .language:       OpenCL C
    .language_version:
      - 2
      - 0
    .max_flat_workgroup_size: 1024
    .name:           _ZN2at6native12_GLOBAL__N_143conv_depthwise3d_cuda_backward_input_kernelIN3c104HalfEfLi3ELi3ELi3ELin1ELin1ELin1ELin1ELin1ELin1EEEvN5torch10headeronly6detail27GenericPackedTensorAccessorINS7_14TensorAccessorINS3_8ArrayRefIlEEKT_Lm4ENS6_16DefaultPtrTraitsEiEENS_6detail16IndexBoundsCheckILm5EiEESD_Lm5ESE_iEENS8_INS9_ISB_SC_Lm4ESE_iEESI_SC_Lm5ESE_iEESJ_iiiiiiiii
    .private_segment_fixed_size: 0
    .sgpr_count:     107
    .sgpr_spill_count: 18
    .symbol:         _ZN2at6native12_GLOBAL__N_143conv_depthwise3d_cuda_backward_input_kernelIN3c104HalfEfLi3ELi3ELi3ELin1ELin1ELin1ELin1ELin1ELin1EEEvN5torch10headeronly6detail27GenericPackedTensorAccessorINS7_14TensorAccessorINS3_8ArrayRefIlEEKT_Lm4ENS6_16DefaultPtrTraitsEiEENS_6detail16IndexBoundsCheckILm5EiEESD_Lm5ESE_iEENS8_INS9_ISB_SC_Lm4ESE_iEESI_SC_Lm5ESE_iEESJ_iiiiiiiii.kd
    .uniform_work_group_size: 1
    .uses_dynamic_stack: false
    .vgpr_count:     126
    .vgpr_spill_count: 0
    .wavefront_size: 32
    .workgroup_processor_mode: 1
  - .args:
      - .offset:         0
        .size:           48
        .value_kind:     by_value
      - .offset:         48
        .size:           48
        .value_kind:     by_value
      - .offset:         96
        .size:           48
        .value_kind:     by_value
      - .offset:         144
        .size:           4
        .value_kind:     by_value
      - .offset:         148
        .size:           4
        .value_kind:     by_value
      - .offset:         152
        .size:           4
        .value_kind:     by_value
      - .offset:         156
        .size:           4
        .value_kind:     by_value
      - .offset:         160
        .size:           4
        .value_kind:     by_value
      - .offset:         164
        .size:           4
        .value_kind:     by_value
      - .offset:         168
        .size:           4
        .value_kind:     by_value
      - .offset:         172
        .size:           4
        .value_kind:     by_value
      - .offset:         176
        .size:           4
        .value_kind:     by_value
      - .offset:         184
        .size:           4
        .value_kind:     hidden_block_count_x
      - .offset:         188
        .size:           4
        .value_kind:     hidden_block_count_y
      - .offset:         192
        .size:           4
        .value_kind:     hidden_block_count_z
      - .offset:         196
        .size:           2
        .value_kind:     hidden_group_size_x
      - .offset:         198
        .size:           2
        .value_kind:     hidden_group_size_y
      - .offset:         200
        .size:           2
        .value_kind:     hidden_group_size_z
      - .offset:         202
        .size:           2
        .value_kind:     hidden_remainder_x
      - .offset:         204
        .size:           2
        .value_kind:     hidden_remainder_y
      - .offset:         206
        .size:           2
        .value_kind:     hidden_remainder_z
      - .offset:         224
        .size:           8
        .value_kind:     hidden_global_offset_x
      - .offset:         232
        .size:           8
        .value_kind:     hidden_global_offset_y
      - .offset:         240
        .size:           8
        .value_kind:     hidden_global_offset_z
      - .offset:         248
        .size:           2
        .value_kind:     hidden_grid_dims
    .group_segment_fixed_size: 0
    .kernarg_segment_align: 8
    .kernarg_segment_size: 440
    .language:       OpenCL C
    .language_version:
      - 2
      - 0
    .max_flat_workgroup_size: 1024
    .name:           _ZN2at6native12_GLOBAL__N_143conv_depthwise3d_cuda_backward_input_kernelIN3c104HalfEfLin1ELin1ELin1ELin1ELin1ELin1ELin1ELin1ELin1EEEvN5torch10headeronly6detail27GenericPackedTensorAccessorINS7_14TensorAccessorINS3_8ArrayRefIlEEKT_Lm4ENS6_16DefaultPtrTraitsEiEENS_6detail16IndexBoundsCheckILm5EiEESD_Lm5ESE_iEENS8_INS9_ISB_SC_Lm4ESE_iEESI_SC_Lm5ESE_iEESJ_iiiiiiiii
    .private_segment_fixed_size: 0
    .sgpr_count:     77
    .sgpr_spill_count: 0
    .symbol:         _ZN2at6native12_GLOBAL__N_143conv_depthwise3d_cuda_backward_input_kernelIN3c104HalfEfLin1ELin1ELin1ELin1ELin1ELin1ELin1ELin1ELin1EEEvN5torch10headeronly6detail27GenericPackedTensorAccessorINS7_14TensorAccessorINS3_8ArrayRefIlEEKT_Lm4ENS6_16DefaultPtrTraitsEiEENS_6detail16IndexBoundsCheckILm5EiEESD_Lm5ESE_iEENS8_INS9_ISB_SC_Lm4ESE_iEESI_SC_Lm5ESE_iEESJ_iiiiiiiii.kd
    .uniform_work_group_size: 1
    .uses_dynamic_stack: false
    .vgpr_count:     27
    .vgpr_spill_count: 0
    .wavefront_size: 32
    .workgroup_processor_mode: 1
  - .args:
      - .offset:         0
        .size:           48
        .value_kind:     by_value
      - .offset:         48
        .size:           48
        .value_kind:     by_value
      - .offset:         96
        .size:           48
        .value_kind:     by_value
      - .offset:         144
        .size:           4
        .value_kind:     by_value
      - .offset:         148
        .size:           4
        .value_kind:     by_value
      - .offset:         152
        .size:           4
        .value_kind:     by_value
      - .offset:         156
        .size:           4
        .value_kind:     by_value
      - .offset:         160
        .size:           4
        .value_kind:     by_value
      - .offset:         164
        .size:           4
        .value_kind:     by_value
      - .offset:         168
        .size:           4
        .value_kind:     by_value
      - .offset:         172
        .size:           4
        .value_kind:     by_value
      - .offset:         176
        .size:           4
        .value_kind:     by_value
      - .offset:         184
        .size:           4
        .value_kind:     hidden_block_count_x
      - .offset:         188
        .size:           4
        .value_kind:     hidden_block_count_y
      - .offset:         192
        .size:           4
        .value_kind:     hidden_block_count_z
      - .offset:         196
        .size:           2
        .value_kind:     hidden_group_size_x
      - .offset:         198
        .size:           2
        .value_kind:     hidden_group_size_y
      - .offset:         200
        .size:           2
        .value_kind:     hidden_group_size_z
      - .offset:         202
        .size:           2
        .value_kind:     hidden_remainder_x
      - .offset:         204
        .size:           2
        .value_kind:     hidden_remainder_y
      - .offset:         206
        .size:           2
        .value_kind:     hidden_remainder_z
      - .offset:         224
        .size:           8
        .value_kind:     hidden_global_offset_x
      - .offset:         232
        .size:           8
        .value_kind:     hidden_global_offset_y
      - .offset:         240
        .size:           8
        .value_kind:     hidden_global_offset_z
      - .offset:         248
        .size:           2
        .value_kind:     hidden_grid_dims
    .group_segment_fixed_size: 0
    .kernarg_segment_align: 8
    .kernarg_segment_size: 440
    .language:       OpenCL C
    .language_version:
      - 2
      - 0
    .max_flat_workgroup_size: 1024
    .name:           _ZN2at6native12_GLOBAL__N_143conv_depthwise3d_cuda_backward_input_kernelIN3c108BFloat16EfLi3ELi3ELi3ELi1ELi1ELi1ELi1ELi1ELi1EEEvN5torch10headeronly6detail27GenericPackedTensorAccessorINS7_14TensorAccessorINS3_8ArrayRefIlEEKT_Lm4ENS6_16DefaultPtrTraitsEiEENS_6detail16IndexBoundsCheckILm5EiEESD_Lm5ESE_iEENS8_INS9_ISB_SC_Lm4ESE_iEESI_SC_Lm5ESE_iEESJ_iiiiiiiii
    .private_segment_fixed_size: 0
    .sgpr_count:     75
    .sgpr_spill_count: 0
    .symbol:         _ZN2at6native12_GLOBAL__N_143conv_depthwise3d_cuda_backward_input_kernelIN3c108BFloat16EfLi3ELi3ELi3ELi1ELi1ELi1ELi1ELi1ELi1EEEvN5torch10headeronly6detail27GenericPackedTensorAccessorINS7_14TensorAccessorINS3_8ArrayRefIlEEKT_Lm4ENS6_16DefaultPtrTraitsEiEENS_6detail16IndexBoundsCheckILm5EiEESD_Lm5ESE_iEENS8_INS9_ISB_SC_Lm4ESE_iEESI_SC_Lm5ESE_iEESJ_iiiiiiiii.kd
    .uniform_work_group_size: 1
    .uses_dynamic_stack: false
    .vgpr_count:     126
    .vgpr_spill_count: 0
    .wavefront_size: 32
    .workgroup_processor_mode: 1
  - .args:
      - .offset:         0
        .size:           48
        .value_kind:     by_value
      - .offset:         48
        .size:           48
        .value_kind:     by_value
      - .offset:         96
        .size:           48
        .value_kind:     by_value
      - .offset:         144
        .size:           4
        .value_kind:     by_value
      - .offset:         148
        .size:           4
        .value_kind:     by_value
      - .offset:         152
        .size:           4
        .value_kind:     by_value
      - .offset:         156
        .size:           4
        .value_kind:     by_value
      - .offset:         160
        .size:           4
        .value_kind:     by_value
      - .offset:         164
        .size:           4
        .value_kind:     by_value
      - .offset:         168
        .size:           4
        .value_kind:     by_value
      - .offset:         172
        .size:           4
        .value_kind:     by_value
      - .offset:         176
        .size:           4
        .value_kind:     by_value
      - .offset:         184
        .size:           4
        .value_kind:     hidden_block_count_x
      - .offset:         188
        .size:           4
        .value_kind:     hidden_block_count_y
      - .offset:         192
        .size:           4
        .value_kind:     hidden_block_count_z
      - .offset:         196
        .size:           2
        .value_kind:     hidden_group_size_x
      - .offset:         198
        .size:           2
        .value_kind:     hidden_group_size_y
      - .offset:         200
        .size:           2
        .value_kind:     hidden_group_size_z
      - .offset:         202
        .size:           2
        .value_kind:     hidden_remainder_x
      - .offset:         204
        .size:           2
        .value_kind:     hidden_remainder_y
      - .offset:         206
        .size:           2
        .value_kind:     hidden_remainder_z
      - .offset:         224
        .size:           8
        .value_kind:     hidden_global_offset_x
      - .offset:         232
        .size:           8
        .value_kind:     hidden_global_offset_y
      - .offset:         240
        .size:           8
        .value_kind:     hidden_global_offset_z
      - .offset:         248
        .size:           2
        .value_kind:     hidden_grid_dims
    .group_segment_fixed_size: 0
    .kernarg_segment_align: 8
    .kernarg_segment_size: 440
    .language:       OpenCL C
    .language_version:
      - 2
      - 0
    .max_flat_workgroup_size: 1024
    .name:           _ZN2at6native12_GLOBAL__N_143conv_depthwise3d_cuda_backward_input_kernelIN3c108BFloat16EfLi3ELi3ELi3ELi1ELi1ELi1ELin1ELin1ELin1EEEvN5torch10headeronly6detail27GenericPackedTensorAccessorINS7_14TensorAccessorINS3_8ArrayRefIlEEKT_Lm4ENS6_16DefaultPtrTraitsEiEENS_6detail16IndexBoundsCheckILm5EiEESD_Lm5ESE_iEENS8_INS9_ISB_SC_Lm4ESE_iEESI_SC_Lm5ESE_iEESJ_iiiiiiiii
    .private_segment_fixed_size: 0
    .sgpr_count:     107
    .sgpr_spill_count: 13
    .symbol:         _ZN2at6native12_GLOBAL__N_143conv_depthwise3d_cuda_backward_input_kernelIN3c108BFloat16EfLi3ELi3ELi3ELi1ELi1ELi1ELin1ELin1ELin1EEEvN5torch10headeronly6detail27GenericPackedTensorAccessorINS7_14TensorAccessorINS3_8ArrayRefIlEEKT_Lm4ENS6_16DefaultPtrTraitsEiEENS_6detail16IndexBoundsCheckILm5EiEESD_Lm5ESE_iEENS8_INS9_ISB_SC_Lm4ESE_iEESI_SC_Lm5ESE_iEESJ_iiiiiiiii.kd
    .uniform_work_group_size: 1
    .uses_dynamic_stack: false
    .vgpr_count:     126
    .vgpr_spill_count: 0
    .wavefront_size: 32
    .workgroup_processor_mode: 1
  - .args:
      - .offset:         0
        .size:           48
        .value_kind:     by_value
      - .offset:         48
        .size:           48
        .value_kind:     by_value
      - .offset:         96
        .size:           48
        .value_kind:     by_value
      - .offset:         144
        .size:           4
        .value_kind:     by_value
      - .offset:         148
        .size:           4
        .value_kind:     by_value
      - .offset:         152
        .size:           4
        .value_kind:     by_value
      - .offset:         156
        .size:           4
        .value_kind:     by_value
      - .offset:         160
        .size:           4
        .value_kind:     by_value
      - .offset:         164
        .size:           4
        .value_kind:     by_value
      - .offset:         168
        .size:           4
        .value_kind:     by_value
      - .offset:         172
        .size:           4
        .value_kind:     by_value
      - .offset:         176
        .size:           4
        .value_kind:     by_value
      - .offset:         184
        .size:           4
        .value_kind:     hidden_block_count_x
      - .offset:         188
        .size:           4
        .value_kind:     hidden_block_count_y
      - .offset:         192
        .size:           4
        .value_kind:     hidden_block_count_z
      - .offset:         196
        .size:           2
        .value_kind:     hidden_group_size_x
      - .offset:         198
        .size:           2
        .value_kind:     hidden_group_size_y
      - .offset:         200
        .size:           2
        .value_kind:     hidden_group_size_z
      - .offset:         202
        .size:           2
        .value_kind:     hidden_remainder_x
      - .offset:         204
        .size:           2
        .value_kind:     hidden_remainder_y
      - .offset:         206
        .size:           2
        .value_kind:     hidden_remainder_z
      - .offset:         224
        .size:           8
        .value_kind:     hidden_global_offset_x
      - .offset:         232
        .size:           8
        .value_kind:     hidden_global_offset_y
      - .offset:         240
        .size:           8
        .value_kind:     hidden_global_offset_z
      - .offset:         248
        .size:           2
        .value_kind:     hidden_grid_dims
    .group_segment_fixed_size: 0
    .kernarg_segment_align: 8
    .kernarg_segment_size: 440
    .language:       OpenCL C
    .language_version:
      - 2
      - 0
    .max_flat_workgroup_size: 1024
    .name:           _ZN2at6native12_GLOBAL__N_143conv_depthwise3d_cuda_backward_input_kernelIN3c108BFloat16EfLi3ELi3ELi3ELin1ELin1ELin1ELi1ELi1ELi1EEEvN5torch10headeronly6detail27GenericPackedTensorAccessorINS7_14TensorAccessorINS3_8ArrayRefIlEEKT_Lm4ENS6_16DefaultPtrTraitsEiEENS_6detail16IndexBoundsCheckILm5EiEESD_Lm5ESE_iEENS8_INS9_ISB_SC_Lm4ESE_iEESI_SC_Lm5ESE_iEESJ_iiiiiiiii
    .private_segment_fixed_size: 0
    .sgpr_count:     81
    .sgpr_spill_count: 0
    .symbol:         _ZN2at6native12_GLOBAL__N_143conv_depthwise3d_cuda_backward_input_kernelIN3c108BFloat16EfLi3ELi3ELi3ELin1ELin1ELin1ELi1ELi1ELi1EEEvN5torch10headeronly6detail27GenericPackedTensorAccessorINS7_14TensorAccessorINS3_8ArrayRefIlEEKT_Lm4ENS6_16DefaultPtrTraitsEiEENS_6detail16IndexBoundsCheckILm5EiEESD_Lm5ESE_iEENS8_INS9_ISB_SC_Lm4ESE_iEESI_SC_Lm5ESE_iEESJ_iiiiiiiii.kd
    .uniform_work_group_size: 1
    .uses_dynamic_stack: false
    .vgpr_count:     126
    .vgpr_spill_count: 0
    .wavefront_size: 32
    .workgroup_processor_mode: 1
  - .args:
      - .offset:         0
        .size:           48
        .value_kind:     by_value
      - .offset:         48
        .size:           48
        .value_kind:     by_value
      - .offset:         96
        .size:           48
        .value_kind:     by_value
      - .offset:         144
        .size:           4
        .value_kind:     by_value
      - .offset:         148
        .size:           4
        .value_kind:     by_value
      - .offset:         152
        .size:           4
        .value_kind:     by_value
      - .offset:         156
        .size:           4
        .value_kind:     by_value
      - .offset:         160
        .size:           4
        .value_kind:     by_value
      - .offset:         164
        .size:           4
        .value_kind:     by_value
      - .offset:         168
        .size:           4
        .value_kind:     by_value
      - .offset:         172
        .size:           4
        .value_kind:     by_value
      - .offset:         176
        .size:           4
        .value_kind:     by_value
      - .offset:         184
        .size:           4
        .value_kind:     hidden_block_count_x
      - .offset:         188
        .size:           4
        .value_kind:     hidden_block_count_y
      - .offset:         192
        .size:           4
        .value_kind:     hidden_block_count_z
      - .offset:         196
        .size:           2
        .value_kind:     hidden_group_size_x
      - .offset:         198
        .size:           2
        .value_kind:     hidden_group_size_y
      - .offset:         200
        .size:           2
        .value_kind:     hidden_group_size_z
      - .offset:         202
        .size:           2
        .value_kind:     hidden_remainder_x
      - .offset:         204
        .size:           2
        .value_kind:     hidden_remainder_y
      - .offset:         206
        .size:           2
        .value_kind:     hidden_remainder_z
      - .offset:         224
        .size:           8
        .value_kind:     hidden_global_offset_x
      - .offset:         232
        .size:           8
        .value_kind:     hidden_global_offset_y
      - .offset:         240
        .size:           8
        .value_kind:     hidden_global_offset_z
      - .offset:         248
        .size:           2
        .value_kind:     hidden_grid_dims
    .group_segment_fixed_size: 0
    .kernarg_segment_align: 8
    .kernarg_segment_size: 440
    .language:       OpenCL C
    .language_version:
      - 2
      - 0
    .max_flat_workgroup_size: 1024
    .name:           _ZN2at6native12_GLOBAL__N_143conv_depthwise3d_cuda_backward_input_kernelIN3c108BFloat16EfLi3ELi3ELi3ELin1ELin1ELin1ELin1ELin1ELin1EEEvN5torch10headeronly6detail27GenericPackedTensorAccessorINS7_14TensorAccessorINS3_8ArrayRefIlEEKT_Lm4ENS6_16DefaultPtrTraitsEiEENS_6detail16IndexBoundsCheckILm5EiEESD_Lm5ESE_iEENS8_INS9_ISB_SC_Lm4ESE_iEESI_SC_Lm5ESE_iEESJ_iiiiiiiii
    .private_segment_fixed_size: 0
    .sgpr_count:     107
    .sgpr_spill_count: 18
    .symbol:         _ZN2at6native12_GLOBAL__N_143conv_depthwise3d_cuda_backward_input_kernelIN3c108BFloat16EfLi3ELi3ELi3ELin1ELin1ELin1ELin1ELin1ELin1EEEvN5torch10headeronly6detail27GenericPackedTensorAccessorINS7_14TensorAccessorINS3_8ArrayRefIlEEKT_Lm4ENS6_16DefaultPtrTraitsEiEENS_6detail16IndexBoundsCheckILm5EiEESD_Lm5ESE_iEENS8_INS9_ISB_SC_Lm4ESE_iEESI_SC_Lm5ESE_iEESJ_iiiiiiiii.kd
    .uniform_work_group_size: 1
    .uses_dynamic_stack: false
    .vgpr_count:     126
    .vgpr_spill_count: 0
    .wavefront_size: 32
    .workgroup_processor_mode: 1
  - .args:
      - .offset:         0
        .size:           48
        .value_kind:     by_value
      - .offset:         48
        .size:           48
        .value_kind:     by_value
      - .offset:         96
        .size:           48
        .value_kind:     by_value
      - .offset:         144
        .size:           4
        .value_kind:     by_value
      - .offset:         148
        .size:           4
        .value_kind:     by_value
      - .offset:         152
        .size:           4
        .value_kind:     by_value
      - .offset:         156
        .size:           4
        .value_kind:     by_value
      - .offset:         160
        .size:           4
        .value_kind:     by_value
      - .offset:         164
        .size:           4
        .value_kind:     by_value
      - .offset:         168
        .size:           4
        .value_kind:     by_value
      - .offset:         172
        .size:           4
        .value_kind:     by_value
      - .offset:         176
        .size:           4
        .value_kind:     by_value
      - .offset:         184
        .size:           4
        .value_kind:     hidden_block_count_x
      - .offset:         188
        .size:           4
        .value_kind:     hidden_block_count_y
      - .offset:         192
        .size:           4
        .value_kind:     hidden_block_count_z
      - .offset:         196
        .size:           2
        .value_kind:     hidden_group_size_x
      - .offset:         198
        .size:           2
        .value_kind:     hidden_group_size_y
      - .offset:         200
        .size:           2
        .value_kind:     hidden_group_size_z
      - .offset:         202
        .size:           2
        .value_kind:     hidden_remainder_x
      - .offset:         204
        .size:           2
        .value_kind:     hidden_remainder_y
      - .offset:         206
        .size:           2
        .value_kind:     hidden_remainder_z
      - .offset:         224
        .size:           8
        .value_kind:     hidden_global_offset_x
      - .offset:         232
        .size:           8
        .value_kind:     hidden_global_offset_y
      - .offset:         240
        .size:           8
        .value_kind:     hidden_global_offset_z
      - .offset:         248
        .size:           2
        .value_kind:     hidden_grid_dims
    .group_segment_fixed_size: 0
    .kernarg_segment_align: 8
    .kernarg_segment_size: 440
    .language:       OpenCL C
    .language_version:
      - 2
      - 0
    .max_flat_workgroup_size: 1024
    .name:           _ZN2at6native12_GLOBAL__N_143conv_depthwise3d_cuda_backward_input_kernelIN3c108BFloat16EfLin1ELin1ELin1ELin1ELin1ELin1ELin1ELin1ELin1EEEvN5torch10headeronly6detail27GenericPackedTensorAccessorINS7_14TensorAccessorINS3_8ArrayRefIlEEKT_Lm4ENS6_16DefaultPtrTraitsEiEENS_6detail16IndexBoundsCheckILm5EiEESD_Lm5ESE_iEENS8_INS9_ISB_SC_Lm4ESE_iEESI_SC_Lm5ESE_iEESJ_iiiiiiiii
    .private_segment_fixed_size: 0
    .sgpr_count:     77
    .sgpr_spill_count: 0
    .symbol:         _ZN2at6native12_GLOBAL__N_143conv_depthwise3d_cuda_backward_input_kernelIN3c108BFloat16EfLin1ELin1ELin1ELin1ELin1ELin1ELin1ELin1ELin1EEEvN5torch10headeronly6detail27GenericPackedTensorAccessorINS7_14TensorAccessorINS3_8ArrayRefIlEEKT_Lm4ENS6_16DefaultPtrTraitsEiEENS_6detail16IndexBoundsCheckILm5EiEESD_Lm5ESE_iEENS8_INS9_ISB_SC_Lm4ESE_iEESI_SC_Lm5ESE_iEESJ_iiiiiiiii.kd
    .uniform_work_group_size: 1
    .uses_dynamic_stack: false
    .vgpr_count:     27
    .vgpr_spill_count: 0
    .wavefront_size: 32
    .workgroup_processor_mode: 1
  - .args:
      - .offset:         0
        .size:           48
        .value_kind:     by_value
      - .offset:         48
        .size:           48
        .value_kind:     by_value
      - .offset:         96
        .size:           48
        .value_kind:     by_value
      - .offset:         144
        .size:           4
        .value_kind:     by_value
      - .offset:         148
        .size:           4
        .value_kind:     by_value
      - .offset:         152
        .size:           4
        .value_kind:     by_value
      - .offset:         156
        .size:           4
        .value_kind:     by_value
      - .offset:         160
        .size:           4
        .value_kind:     by_value
      - .offset:         164
        .size:           4
        .value_kind:     by_value
      - .offset:         168
        .size:           4
        .value_kind:     by_value
      - .offset:         172
        .size:           4
        .value_kind:     by_value
      - .offset:         176
        .size:           4
        .value_kind:     by_value
      - .offset:         184
        .size:           4
        .value_kind:     hidden_block_count_x
      - .offset:         188
        .size:           4
        .value_kind:     hidden_block_count_y
      - .offset:         192
        .size:           4
        .value_kind:     hidden_block_count_z
      - .offset:         196
        .size:           2
        .value_kind:     hidden_group_size_x
      - .offset:         198
        .size:           2
        .value_kind:     hidden_group_size_y
      - .offset:         200
        .size:           2
        .value_kind:     hidden_group_size_z
      - .offset:         202
        .size:           2
        .value_kind:     hidden_remainder_x
      - .offset:         204
        .size:           2
        .value_kind:     hidden_remainder_y
      - .offset:         206
        .size:           2
        .value_kind:     hidden_remainder_z
      - .offset:         224
        .size:           8
        .value_kind:     hidden_global_offset_x
      - .offset:         232
        .size:           8
        .value_kind:     hidden_global_offset_y
      - .offset:         240
        .size:           8
        .value_kind:     hidden_global_offset_z
      - .offset:         248
        .size:           2
        .value_kind:     hidden_grid_dims
      - .offset:         304
        .size:           4
        .value_kind:     hidden_dynamic_lds_size
    .group_segment_fixed_size: 0
    .kernarg_segment_align: 8
    .kernarg_segment_size: 440
    .language:       OpenCL C
    .language_version:
      - 2
      - 0
    .max_flat_workgroup_size: 1024
    .name:           _ZN2at6native12_GLOBAL__N_144conv_depthwise3d_cuda_backward_weight_kernelIddLi1ELi1EEEvN5torch10headeronly6detail27GenericPackedTensorAccessorINS5_14TensorAccessorIN3c108ArrayRefIlEEKT_Lm4ENS4_16DefaultPtrTraitsEiEENS_6detail16IndexBoundsCheckILm5EiEESC_Lm5ESD_iEESI_NS6_INS7_ISA_SB_Lm4ESD_iEESH_SB_Lm5ESD_iEEiiiiiiiii
    .private_segment_fixed_size: 0
    .sgpr_count:     48
    .sgpr_spill_count: 0
    .symbol:         _ZN2at6native12_GLOBAL__N_144conv_depthwise3d_cuda_backward_weight_kernelIddLi1ELi1EEEvN5torch10headeronly6detail27GenericPackedTensorAccessorINS5_14TensorAccessorIN3c108ArrayRefIlEEKT_Lm4ENS4_16DefaultPtrTraitsEiEENS_6detail16IndexBoundsCheckILm5EiEESC_Lm5ESD_iEESI_NS6_INS7_ISA_SB_Lm4ESD_iEESH_SB_Lm5ESD_iEEiiiiiiiii.kd
    .uniform_work_group_size: 1
    .uses_dynamic_stack: false
    .vgpr_count:     22
    .vgpr_spill_count: 0
    .wavefront_size: 32
    .workgroup_processor_mode: 1
  - .args:
      - .offset:         0
        .size:           48
        .value_kind:     by_value
      - .offset:         48
        .size:           48
        .value_kind:     by_value
      - .offset:         96
        .size:           48
        .value_kind:     by_value
      - .offset:         144
        .size:           4
        .value_kind:     by_value
      - .offset:         148
        .size:           4
        .value_kind:     by_value
      - .offset:         152
        .size:           4
        .value_kind:     by_value
      - .offset:         156
        .size:           4
        .value_kind:     by_value
      - .offset:         160
        .size:           4
        .value_kind:     by_value
      - .offset:         164
        .size:           4
        .value_kind:     by_value
      - .offset:         168
        .size:           4
        .value_kind:     by_value
      - .offset:         172
        .size:           4
        .value_kind:     by_value
      - .offset:         176
        .size:           4
        .value_kind:     by_value
      - .offset:         184
        .size:           4
        .value_kind:     hidden_block_count_x
      - .offset:         188
        .size:           4
        .value_kind:     hidden_block_count_y
      - .offset:         192
        .size:           4
        .value_kind:     hidden_block_count_z
      - .offset:         196
        .size:           2
        .value_kind:     hidden_group_size_x
      - .offset:         198
        .size:           2
        .value_kind:     hidden_group_size_y
      - .offset:         200
        .size:           2
        .value_kind:     hidden_group_size_z
      - .offset:         202
        .size:           2
        .value_kind:     hidden_remainder_x
      - .offset:         204
        .size:           2
        .value_kind:     hidden_remainder_y
      - .offset:         206
        .size:           2
        .value_kind:     hidden_remainder_z
      - .offset:         224
        .size:           8
        .value_kind:     hidden_global_offset_x
      - .offset:         232
        .size:           8
        .value_kind:     hidden_global_offset_y
      - .offset:         240
        .size:           8
        .value_kind:     hidden_global_offset_z
      - .offset:         248
        .size:           2
        .value_kind:     hidden_grid_dims
      - .offset:         304
        .size:           4
        .value_kind:     hidden_dynamic_lds_size
    .group_segment_fixed_size: 0
    .kernarg_segment_align: 8
    .kernarg_segment_size: 440
    .language:       OpenCL C
    .language_version:
      - 2
      - 0
    .max_flat_workgroup_size: 1024
    .name:           _ZN2at6native12_GLOBAL__N_144conv_depthwise3d_cuda_backward_weight_kernelIddLi2ELi2EEEvN5torch10headeronly6detail27GenericPackedTensorAccessorINS5_14TensorAccessorIN3c108ArrayRefIlEEKT_Lm4ENS4_16DefaultPtrTraitsEiEENS_6detail16IndexBoundsCheckILm5EiEESC_Lm5ESD_iEESI_NS6_INS7_ISA_SB_Lm4ESD_iEESH_SB_Lm5ESD_iEEiiiiiiiii
    .private_segment_fixed_size: 0
    .sgpr_count:     48
    .sgpr_spill_count: 0
    .symbol:         _ZN2at6native12_GLOBAL__N_144conv_depthwise3d_cuda_backward_weight_kernelIddLi2ELi2EEEvN5torch10headeronly6detail27GenericPackedTensorAccessorINS5_14TensorAccessorIN3c108ArrayRefIlEEKT_Lm4ENS4_16DefaultPtrTraitsEiEENS_6detail16IndexBoundsCheckILm5EiEESC_Lm5ESD_iEESI_NS6_INS7_ISA_SB_Lm4ESD_iEESH_SB_Lm5ESD_iEEiiiiiiiii.kd
    .uniform_work_group_size: 1
    .uses_dynamic_stack: false
    .vgpr_count:     22
    .vgpr_spill_count: 0
    .wavefront_size: 32
    .workgroup_processor_mode: 1
  - .args:
      - .offset:         0
        .size:           48
        .value_kind:     by_value
      - .offset:         48
        .size:           48
        .value_kind:     by_value
      - .offset:         96
        .size:           48
        .value_kind:     by_value
      - .offset:         144
        .size:           4
        .value_kind:     by_value
      - .offset:         148
        .size:           4
        .value_kind:     by_value
      - .offset:         152
        .size:           4
        .value_kind:     by_value
      - .offset:         156
        .size:           4
        .value_kind:     by_value
      - .offset:         160
        .size:           4
        .value_kind:     by_value
      - .offset:         164
        .size:           4
        .value_kind:     by_value
      - .offset:         168
        .size:           4
        .value_kind:     by_value
      - .offset:         172
        .size:           4
        .value_kind:     by_value
      - .offset:         176
        .size:           4
        .value_kind:     by_value
      - .offset:         184
        .size:           4
        .value_kind:     hidden_block_count_x
      - .offset:         188
        .size:           4
        .value_kind:     hidden_block_count_y
      - .offset:         192
        .size:           4
        .value_kind:     hidden_block_count_z
      - .offset:         196
        .size:           2
        .value_kind:     hidden_group_size_x
      - .offset:         198
        .size:           2
        .value_kind:     hidden_group_size_y
      - .offset:         200
        .size:           2
        .value_kind:     hidden_group_size_z
      - .offset:         202
        .size:           2
        .value_kind:     hidden_remainder_x
      - .offset:         204
        .size:           2
        .value_kind:     hidden_remainder_y
      - .offset:         206
        .size:           2
        .value_kind:     hidden_remainder_z
      - .offset:         224
        .size:           8
        .value_kind:     hidden_global_offset_x
      - .offset:         232
        .size:           8
        .value_kind:     hidden_global_offset_y
      - .offset:         240
        .size:           8
        .value_kind:     hidden_global_offset_z
      - .offset:         248
        .size:           2
        .value_kind:     hidden_grid_dims
      - .offset:         304
        .size:           4
        .value_kind:     hidden_dynamic_lds_size
    .group_segment_fixed_size: 0
    .kernarg_segment_align: 8
    .kernarg_segment_size: 440
    .language:       OpenCL C
    .language_version:
      - 2
      - 0
    .max_flat_workgroup_size: 1024
    .name:           _ZN2at6native12_GLOBAL__N_144conv_depthwise3d_cuda_backward_weight_kernelIddLin1ELin1EEEvN5torch10headeronly6detail27GenericPackedTensorAccessorINS5_14TensorAccessorIN3c108ArrayRefIlEEKT_Lm4ENS4_16DefaultPtrTraitsEiEENS_6detail16IndexBoundsCheckILm5EiEESC_Lm5ESD_iEESI_NS6_INS7_ISA_SB_Lm4ESD_iEESH_SB_Lm5ESD_iEEiiiiiiiii
    .private_segment_fixed_size: 0
    .sgpr_count:     50
    .sgpr_spill_count: 0
    .symbol:         _ZN2at6native12_GLOBAL__N_144conv_depthwise3d_cuda_backward_weight_kernelIddLin1ELin1EEEvN5torch10headeronly6detail27GenericPackedTensorAccessorINS5_14TensorAccessorIN3c108ArrayRefIlEEKT_Lm4ENS4_16DefaultPtrTraitsEiEENS_6detail16IndexBoundsCheckILm5EiEESC_Lm5ESD_iEESI_NS6_INS7_ISA_SB_Lm4ESD_iEESH_SB_Lm5ESD_iEEiiiiiiiii.kd
    .uniform_work_group_size: 1
    .uses_dynamic_stack: false
    .vgpr_count:     23
    .vgpr_spill_count: 0
    .wavefront_size: 32
    .workgroup_processor_mode: 1
  - .args:
      - .offset:         0
        .size:           48
        .value_kind:     by_value
      - .offset:         48
        .size:           48
        .value_kind:     by_value
      - .offset:         96
        .size:           48
        .value_kind:     by_value
      - .offset:         144
        .size:           4
        .value_kind:     by_value
      - .offset:         148
        .size:           4
        .value_kind:     by_value
      - .offset:         152
        .size:           4
        .value_kind:     by_value
      - .offset:         156
        .size:           4
        .value_kind:     by_value
      - .offset:         160
        .size:           4
        .value_kind:     by_value
      - .offset:         164
        .size:           4
        .value_kind:     by_value
      - .offset:         168
        .size:           4
        .value_kind:     by_value
      - .offset:         172
        .size:           4
        .value_kind:     by_value
      - .offset:         176
        .size:           4
        .value_kind:     by_value
      - .offset:         184
        .size:           4
        .value_kind:     hidden_block_count_x
      - .offset:         188
        .size:           4
        .value_kind:     hidden_block_count_y
      - .offset:         192
        .size:           4
        .value_kind:     hidden_block_count_z
      - .offset:         196
        .size:           2
        .value_kind:     hidden_group_size_x
      - .offset:         198
        .size:           2
        .value_kind:     hidden_group_size_y
      - .offset:         200
        .size:           2
        .value_kind:     hidden_group_size_z
      - .offset:         202
        .size:           2
        .value_kind:     hidden_remainder_x
      - .offset:         204
        .size:           2
        .value_kind:     hidden_remainder_y
      - .offset:         206
        .size:           2
        .value_kind:     hidden_remainder_z
      - .offset:         224
        .size:           8
        .value_kind:     hidden_global_offset_x
      - .offset:         232
        .size:           8
        .value_kind:     hidden_global_offset_y
      - .offset:         240
        .size:           8
        .value_kind:     hidden_global_offset_z
      - .offset:         248
        .size:           2
        .value_kind:     hidden_grid_dims
      - .offset:         304
        .size:           4
        .value_kind:     hidden_dynamic_lds_size
    .group_segment_fixed_size: 0
    .kernarg_segment_align: 8
    .kernarg_segment_size: 440
    .language:       OpenCL C
    .language_version:
      - 2
      - 0
    .max_flat_workgroup_size: 1024
    .name:           _ZN2at6native12_GLOBAL__N_144conv_depthwise3d_cuda_backward_weight_kernelIffLi1ELi1EEEvN5torch10headeronly6detail27GenericPackedTensorAccessorINS5_14TensorAccessorIN3c108ArrayRefIlEEKT_Lm4ENS4_16DefaultPtrTraitsEiEENS_6detail16IndexBoundsCheckILm5EiEESC_Lm5ESD_iEESI_NS6_INS7_ISA_SB_Lm4ESD_iEESH_SB_Lm5ESD_iEEiiiiiiiii
    .private_segment_fixed_size: 0
    .sgpr_count:     48
    .sgpr_spill_count: 0
    .symbol:         _ZN2at6native12_GLOBAL__N_144conv_depthwise3d_cuda_backward_weight_kernelIffLi1ELi1EEEvN5torch10headeronly6detail27GenericPackedTensorAccessorINS5_14TensorAccessorIN3c108ArrayRefIlEEKT_Lm4ENS4_16DefaultPtrTraitsEiEENS_6detail16IndexBoundsCheckILm5EiEESC_Lm5ESD_iEESI_NS6_INS7_ISA_SB_Lm4ESD_iEESH_SB_Lm5ESD_iEEiiiiiiiii.kd
    .uniform_work_group_size: 1
    .uses_dynamic_stack: false
    .vgpr_count:     19
    .vgpr_spill_count: 0
    .wavefront_size: 32
    .workgroup_processor_mode: 1
  - .args:
      - .offset:         0
        .size:           48
        .value_kind:     by_value
      - .offset:         48
        .size:           48
        .value_kind:     by_value
      - .offset:         96
        .size:           48
        .value_kind:     by_value
      - .offset:         144
        .size:           4
        .value_kind:     by_value
      - .offset:         148
        .size:           4
        .value_kind:     by_value
      - .offset:         152
        .size:           4
        .value_kind:     by_value
      - .offset:         156
        .size:           4
        .value_kind:     by_value
      - .offset:         160
        .size:           4
        .value_kind:     by_value
      - .offset:         164
        .size:           4
        .value_kind:     by_value
      - .offset:         168
        .size:           4
        .value_kind:     by_value
      - .offset:         172
        .size:           4
        .value_kind:     by_value
      - .offset:         176
        .size:           4
        .value_kind:     by_value
      - .offset:         184
        .size:           4
        .value_kind:     hidden_block_count_x
      - .offset:         188
        .size:           4
        .value_kind:     hidden_block_count_y
      - .offset:         192
        .size:           4
        .value_kind:     hidden_block_count_z
      - .offset:         196
        .size:           2
        .value_kind:     hidden_group_size_x
      - .offset:         198
        .size:           2
        .value_kind:     hidden_group_size_y
      - .offset:         200
        .size:           2
        .value_kind:     hidden_group_size_z
      - .offset:         202
        .size:           2
        .value_kind:     hidden_remainder_x
      - .offset:         204
        .size:           2
        .value_kind:     hidden_remainder_y
      - .offset:         206
        .size:           2
        .value_kind:     hidden_remainder_z
      - .offset:         224
        .size:           8
        .value_kind:     hidden_global_offset_x
      - .offset:         232
        .size:           8
        .value_kind:     hidden_global_offset_y
      - .offset:         240
        .size:           8
        .value_kind:     hidden_global_offset_z
      - .offset:         248
        .size:           2
        .value_kind:     hidden_grid_dims
      - .offset:         304
        .size:           4
        .value_kind:     hidden_dynamic_lds_size
    .group_segment_fixed_size: 0
    .kernarg_segment_align: 8
    .kernarg_segment_size: 440
    .language:       OpenCL C
    .language_version:
      - 2
      - 0
    .max_flat_workgroup_size: 1024
    .name:           _ZN2at6native12_GLOBAL__N_144conv_depthwise3d_cuda_backward_weight_kernelIffLi2ELi2EEEvN5torch10headeronly6detail27GenericPackedTensorAccessorINS5_14TensorAccessorIN3c108ArrayRefIlEEKT_Lm4ENS4_16DefaultPtrTraitsEiEENS_6detail16IndexBoundsCheckILm5EiEESC_Lm5ESD_iEESI_NS6_INS7_ISA_SB_Lm4ESD_iEESH_SB_Lm5ESD_iEEiiiiiiiii
    .private_segment_fixed_size: 0
    .sgpr_count:     48
    .sgpr_spill_count: 0
    .symbol:         _ZN2at6native12_GLOBAL__N_144conv_depthwise3d_cuda_backward_weight_kernelIffLi2ELi2EEEvN5torch10headeronly6detail27GenericPackedTensorAccessorINS5_14TensorAccessorIN3c108ArrayRefIlEEKT_Lm4ENS4_16DefaultPtrTraitsEiEENS_6detail16IndexBoundsCheckILm5EiEESC_Lm5ESD_iEESI_NS6_INS7_ISA_SB_Lm4ESD_iEESH_SB_Lm5ESD_iEEiiiiiiiii.kd
    .uniform_work_group_size: 1
    .uses_dynamic_stack: false
    .vgpr_count:     19
    .vgpr_spill_count: 0
    .wavefront_size: 32
    .workgroup_processor_mode: 1
  - .args:
      - .offset:         0
        .size:           48
        .value_kind:     by_value
      - .offset:         48
        .size:           48
        .value_kind:     by_value
      - .offset:         96
        .size:           48
        .value_kind:     by_value
      - .offset:         144
        .size:           4
        .value_kind:     by_value
      - .offset:         148
        .size:           4
        .value_kind:     by_value
      - .offset:         152
        .size:           4
        .value_kind:     by_value
      - .offset:         156
        .size:           4
        .value_kind:     by_value
      - .offset:         160
        .size:           4
        .value_kind:     by_value
      - .offset:         164
        .size:           4
        .value_kind:     by_value
      - .offset:         168
        .size:           4
        .value_kind:     by_value
      - .offset:         172
        .size:           4
        .value_kind:     by_value
      - .offset:         176
        .size:           4
        .value_kind:     by_value
      - .offset:         184
        .size:           4
        .value_kind:     hidden_block_count_x
      - .offset:         188
        .size:           4
        .value_kind:     hidden_block_count_y
      - .offset:         192
        .size:           4
        .value_kind:     hidden_block_count_z
      - .offset:         196
        .size:           2
        .value_kind:     hidden_group_size_x
      - .offset:         198
        .size:           2
        .value_kind:     hidden_group_size_y
      - .offset:         200
        .size:           2
        .value_kind:     hidden_group_size_z
      - .offset:         202
        .size:           2
        .value_kind:     hidden_remainder_x
      - .offset:         204
        .size:           2
        .value_kind:     hidden_remainder_y
      - .offset:         206
        .size:           2
        .value_kind:     hidden_remainder_z
      - .offset:         224
        .size:           8
        .value_kind:     hidden_global_offset_x
      - .offset:         232
        .size:           8
        .value_kind:     hidden_global_offset_y
      - .offset:         240
        .size:           8
        .value_kind:     hidden_global_offset_z
      - .offset:         248
        .size:           2
        .value_kind:     hidden_grid_dims
      - .offset:         304
        .size:           4
        .value_kind:     hidden_dynamic_lds_size
    .group_segment_fixed_size: 0
    .kernarg_segment_align: 8
    .kernarg_segment_size: 440
    .language:       OpenCL C
    .language_version:
      - 2
      - 0
    .max_flat_workgroup_size: 1024
    .name:           _ZN2at6native12_GLOBAL__N_144conv_depthwise3d_cuda_backward_weight_kernelIffLin1ELin1EEEvN5torch10headeronly6detail27GenericPackedTensorAccessorINS5_14TensorAccessorIN3c108ArrayRefIlEEKT_Lm4ENS4_16DefaultPtrTraitsEiEENS_6detail16IndexBoundsCheckILm5EiEESC_Lm5ESD_iEESI_NS6_INS7_ISA_SB_Lm4ESD_iEESH_SB_Lm5ESD_iEEiiiiiiiii
    .private_segment_fixed_size: 0
    .sgpr_count:     50
    .sgpr_spill_count: 0
    .symbol:         _ZN2at6native12_GLOBAL__N_144conv_depthwise3d_cuda_backward_weight_kernelIffLin1ELin1EEEvN5torch10headeronly6detail27GenericPackedTensorAccessorINS5_14TensorAccessorIN3c108ArrayRefIlEEKT_Lm4ENS4_16DefaultPtrTraitsEiEENS_6detail16IndexBoundsCheckILm5EiEESC_Lm5ESD_iEESI_NS6_INS7_ISA_SB_Lm4ESD_iEESH_SB_Lm5ESD_iEEiiiiiiiii.kd
    .uniform_work_group_size: 1
    .uses_dynamic_stack: false
    .vgpr_count:     19
    .vgpr_spill_count: 0
    .wavefront_size: 32
    .workgroup_processor_mode: 1
  - .args:
      - .offset:         0
        .size:           48
        .value_kind:     by_value
      - .offset:         48
        .size:           48
        .value_kind:     by_value
      - .offset:         96
        .size:           48
        .value_kind:     by_value
      - .offset:         144
        .size:           4
        .value_kind:     by_value
      - .offset:         148
        .size:           4
        .value_kind:     by_value
      - .offset:         152
        .size:           4
        .value_kind:     by_value
      - .offset:         156
        .size:           4
        .value_kind:     by_value
      - .offset:         160
        .size:           4
        .value_kind:     by_value
      - .offset:         164
        .size:           4
        .value_kind:     by_value
      - .offset:         168
        .size:           4
        .value_kind:     by_value
      - .offset:         172
        .size:           4
        .value_kind:     by_value
      - .offset:         176
        .size:           4
        .value_kind:     by_value
      - .offset:         184
        .size:           4
        .value_kind:     hidden_block_count_x
      - .offset:         188
        .size:           4
        .value_kind:     hidden_block_count_y
      - .offset:         192
        .size:           4
        .value_kind:     hidden_block_count_z
      - .offset:         196
        .size:           2
        .value_kind:     hidden_group_size_x
      - .offset:         198
        .size:           2
        .value_kind:     hidden_group_size_y
      - .offset:         200
        .size:           2
        .value_kind:     hidden_group_size_z
      - .offset:         202
        .size:           2
        .value_kind:     hidden_remainder_x
      - .offset:         204
        .size:           2
        .value_kind:     hidden_remainder_y
      - .offset:         206
        .size:           2
        .value_kind:     hidden_remainder_z
      - .offset:         224
        .size:           8
        .value_kind:     hidden_global_offset_x
      - .offset:         232
        .size:           8
        .value_kind:     hidden_global_offset_y
      - .offset:         240
        .size:           8
        .value_kind:     hidden_global_offset_z
      - .offset:         248
        .size:           2
        .value_kind:     hidden_grid_dims
      - .offset:         304
        .size:           4
        .value_kind:     hidden_dynamic_lds_size
    .group_segment_fixed_size: 0
    .kernarg_segment_align: 8
    .kernarg_segment_size: 440
    .language:       OpenCL C
    .language_version:
      - 2
      - 0
    .max_flat_workgroup_size: 1024
    .name:           _ZN2at6native12_GLOBAL__N_144conv_depthwise3d_cuda_backward_weight_kernelIN3c104HalfEfLi1ELi1EEEvN5torch10headeronly6detail27GenericPackedTensorAccessorINS7_14TensorAccessorINS3_8ArrayRefIlEEKT_Lm4ENS6_16DefaultPtrTraitsEiEENS_6detail16IndexBoundsCheckILm5EiEESD_Lm5ESE_iEESJ_NS8_INS9_ISB_SC_Lm4ESE_iEESI_SC_Lm5ESE_iEEiiiiiiiii
    .private_segment_fixed_size: 0
    .sgpr_count:     48
    .sgpr_spill_count: 0
    .symbol:         _ZN2at6native12_GLOBAL__N_144conv_depthwise3d_cuda_backward_weight_kernelIN3c104HalfEfLi1ELi1EEEvN5torch10headeronly6detail27GenericPackedTensorAccessorINS7_14TensorAccessorINS3_8ArrayRefIlEEKT_Lm4ENS6_16DefaultPtrTraitsEiEENS_6detail16IndexBoundsCheckILm5EiEESD_Lm5ESE_iEESJ_NS8_INS9_ISB_SC_Lm4ESE_iEESI_SC_Lm5ESE_iEEiiiiiiiii.kd
    .uniform_work_group_size: 1
    .uses_dynamic_stack: false
    .vgpr_count:     19
    .vgpr_spill_count: 0
    .wavefront_size: 32
    .workgroup_processor_mode: 1
  - .args:
      - .offset:         0
        .size:           48
        .value_kind:     by_value
      - .offset:         48
        .size:           48
        .value_kind:     by_value
      - .offset:         96
        .size:           48
        .value_kind:     by_value
      - .offset:         144
        .size:           4
        .value_kind:     by_value
      - .offset:         148
        .size:           4
        .value_kind:     by_value
      - .offset:         152
        .size:           4
        .value_kind:     by_value
      - .offset:         156
        .size:           4
        .value_kind:     by_value
      - .offset:         160
        .size:           4
        .value_kind:     by_value
      - .offset:         164
        .size:           4
        .value_kind:     by_value
      - .offset:         168
        .size:           4
        .value_kind:     by_value
      - .offset:         172
        .size:           4
        .value_kind:     by_value
      - .offset:         176
        .size:           4
        .value_kind:     by_value
      - .offset:         184
        .size:           4
        .value_kind:     hidden_block_count_x
      - .offset:         188
        .size:           4
        .value_kind:     hidden_block_count_y
      - .offset:         192
        .size:           4
        .value_kind:     hidden_block_count_z
      - .offset:         196
        .size:           2
        .value_kind:     hidden_group_size_x
      - .offset:         198
        .size:           2
        .value_kind:     hidden_group_size_y
      - .offset:         200
        .size:           2
        .value_kind:     hidden_group_size_z
      - .offset:         202
        .size:           2
        .value_kind:     hidden_remainder_x
      - .offset:         204
        .size:           2
        .value_kind:     hidden_remainder_y
      - .offset:         206
        .size:           2
        .value_kind:     hidden_remainder_z
      - .offset:         224
        .size:           8
        .value_kind:     hidden_global_offset_x
      - .offset:         232
        .size:           8
        .value_kind:     hidden_global_offset_y
      - .offset:         240
        .size:           8
        .value_kind:     hidden_global_offset_z
      - .offset:         248
        .size:           2
        .value_kind:     hidden_grid_dims
      - .offset:         304
        .size:           4
        .value_kind:     hidden_dynamic_lds_size
    .group_segment_fixed_size: 0
    .kernarg_segment_align: 8
    .kernarg_segment_size: 440
    .language:       OpenCL C
    .language_version:
      - 2
      - 0
    .max_flat_workgroup_size: 1024
    .name:           _ZN2at6native12_GLOBAL__N_144conv_depthwise3d_cuda_backward_weight_kernelIN3c104HalfEfLi2ELi2EEEvN5torch10headeronly6detail27GenericPackedTensorAccessorINS7_14TensorAccessorINS3_8ArrayRefIlEEKT_Lm4ENS6_16DefaultPtrTraitsEiEENS_6detail16IndexBoundsCheckILm5EiEESD_Lm5ESE_iEESJ_NS8_INS9_ISB_SC_Lm4ESE_iEESI_SC_Lm5ESE_iEEiiiiiiiii
    .private_segment_fixed_size: 0
    .sgpr_count:     48
    .sgpr_spill_count: 0
    .symbol:         _ZN2at6native12_GLOBAL__N_144conv_depthwise3d_cuda_backward_weight_kernelIN3c104HalfEfLi2ELi2EEEvN5torch10headeronly6detail27GenericPackedTensorAccessorINS7_14TensorAccessorINS3_8ArrayRefIlEEKT_Lm4ENS6_16DefaultPtrTraitsEiEENS_6detail16IndexBoundsCheckILm5EiEESD_Lm5ESE_iEESJ_NS8_INS9_ISB_SC_Lm4ESE_iEESI_SC_Lm5ESE_iEEiiiiiiiii.kd
    .uniform_work_group_size: 1
    .uses_dynamic_stack: false
    .vgpr_count:     19
    .vgpr_spill_count: 0
    .wavefront_size: 32
    .workgroup_processor_mode: 1
  - .args:
      - .offset:         0
        .size:           48
        .value_kind:     by_value
      - .offset:         48
        .size:           48
        .value_kind:     by_value
      - .offset:         96
        .size:           48
        .value_kind:     by_value
      - .offset:         144
        .size:           4
        .value_kind:     by_value
      - .offset:         148
        .size:           4
        .value_kind:     by_value
      - .offset:         152
        .size:           4
        .value_kind:     by_value
      - .offset:         156
        .size:           4
        .value_kind:     by_value
      - .offset:         160
        .size:           4
        .value_kind:     by_value
      - .offset:         164
        .size:           4
        .value_kind:     by_value
      - .offset:         168
        .size:           4
        .value_kind:     by_value
      - .offset:         172
        .size:           4
        .value_kind:     by_value
      - .offset:         176
        .size:           4
        .value_kind:     by_value
      - .offset:         184
        .size:           4
        .value_kind:     hidden_block_count_x
      - .offset:         188
        .size:           4
        .value_kind:     hidden_block_count_y
      - .offset:         192
        .size:           4
        .value_kind:     hidden_block_count_z
      - .offset:         196
        .size:           2
        .value_kind:     hidden_group_size_x
      - .offset:         198
        .size:           2
        .value_kind:     hidden_group_size_y
      - .offset:         200
        .size:           2
        .value_kind:     hidden_group_size_z
      - .offset:         202
        .size:           2
        .value_kind:     hidden_remainder_x
      - .offset:         204
        .size:           2
        .value_kind:     hidden_remainder_y
      - .offset:         206
        .size:           2
        .value_kind:     hidden_remainder_z
      - .offset:         224
        .size:           8
        .value_kind:     hidden_global_offset_x
      - .offset:         232
        .size:           8
        .value_kind:     hidden_global_offset_y
      - .offset:         240
        .size:           8
        .value_kind:     hidden_global_offset_z
      - .offset:         248
        .size:           2
        .value_kind:     hidden_grid_dims
      - .offset:         304
        .size:           4
        .value_kind:     hidden_dynamic_lds_size
    .group_segment_fixed_size: 0
    .kernarg_segment_align: 8
    .kernarg_segment_size: 440
    .language:       OpenCL C
    .language_version:
      - 2
      - 0
    .max_flat_workgroup_size: 1024
    .name:           _ZN2at6native12_GLOBAL__N_144conv_depthwise3d_cuda_backward_weight_kernelIN3c104HalfEfLin1ELin1EEEvN5torch10headeronly6detail27GenericPackedTensorAccessorINS7_14TensorAccessorINS3_8ArrayRefIlEEKT_Lm4ENS6_16DefaultPtrTraitsEiEENS_6detail16IndexBoundsCheckILm5EiEESD_Lm5ESE_iEESJ_NS8_INS9_ISB_SC_Lm4ESE_iEESI_SC_Lm5ESE_iEEiiiiiiiii
    .private_segment_fixed_size: 0
    .sgpr_count:     50
    .sgpr_spill_count: 0
    .symbol:         _ZN2at6native12_GLOBAL__N_144conv_depthwise3d_cuda_backward_weight_kernelIN3c104HalfEfLin1ELin1EEEvN5torch10headeronly6detail27GenericPackedTensorAccessorINS7_14TensorAccessorINS3_8ArrayRefIlEEKT_Lm4ENS6_16DefaultPtrTraitsEiEENS_6detail16IndexBoundsCheckILm5EiEESD_Lm5ESE_iEESJ_NS8_INS9_ISB_SC_Lm4ESE_iEESI_SC_Lm5ESE_iEEiiiiiiiii.kd
    .uniform_work_group_size: 1
    .uses_dynamic_stack: false
    .vgpr_count:     19
    .vgpr_spill_count: 0
    .wavefront_size: 32
    .workgroup_processor_mode: 1
  - .args:
      - .offset:         0
        .size:           48
        .value_kind:     by_value
      - .offset:         48
        .size:           48
        .value_kind:     by_value
      - .offset:         96
        .size:           48
        .value_kind:     by_value
      - .offset:         144
        .size:           4
        .value_kind:     by_value
      - .offset:         148
        .size:           4
        .value_kind:     by_value
      - .offset:         152
        .size:           4
        .value_kind:     by_value
      - .offset:         156
        .size:           4
        .value_kind:     by_value
      - .offset:         160
        .size:           4
        .value_kind:     by_value
      - .offset:         164
        .size:           4
        .value_kind:     by_value
      - .offset:         168
        .size:           4
        .value_kind:     by_value
      - .offset:         172
        .size:           4
        .value_kind:     by_value
      - .offset:         176
        .size:           4
        .value_kind:     by_value
      - .offset:         184
        .size:           4
        .value_kind:     hidden_block_count_x
      - .offset:         188
        .size:           4
        .value_kind:     hidden_block_count_y
      - .offset:         192
        .size:           4
        .value_kind:     hidden_block_count_z
      - .offset:         196
        .size:           2
        .value_kind:     hidden_group_size_x
      - .offset:         198
        .size:           2
        .value_kind:     hidden_group_size_y
      - .offset:         200
        .size:           2
        .value_kind:     hidden_group_size_z
      - .offset:         202
        .size:           2
        .value_kind:     hidden_remainder_x
      - .offset:         204
        .size:           2
        .value_kind:     hidden_remainder_y
      - .offset:         206
        .size:           2
        .value_kind:     hidden_remainder_z
      - .offset:         224
        .size:           8
        .value_kind:     hidden_global_offset_x
      - .offset:         232
        .size:           8
        .value_kind:     hidden_global_offset_y
      - .offset:         240
        .size:           8
        .value_kind:     hidden_global_offset_z
      - .offset:         248
        .size:           2
        .value_kind:     hidden_grid_dims
      - .offset:         304
        .size:           4
        .value_kind:     hidden_dynamic_lds_size
    .group_segment_fixed_size: 0
    .kernarg_segment_align: 8
    .kernarg_segment_size: 440
    .language:       OpenCL C
    .language_version:
      - 2
      - 0
    .max_flat_workgroup_size: 1024
    .name:           _ZN2at6native12_GLOBAL__N_144conv_depthwise3d_cuda_backward_weight_kernelIN3c108BFloat16EfLi1ELi1EEEvN5torch10headeronly6detail27GenericPackedTensorAccessorINS7_14TensorAccessorINS3_8ArrayRefIlEEKT_Lm4ENS6_16DefaultPtrTraitsEiEENS_6detail16IndexBoundsCheckILm5EiEESD_Lm5ESE_iEESJ_NS8_INS9_ISB_SC_Lm4ESE_iEESI_SC_Lm5ESE_iEEiiiiiiiii
    .private_segment_fixed_size: 0
    .sgpr_count:     48
    .sgpr_spill_count: 0
    .symbol:         _ZN2at6native12_GLOBAL__N_144conv_depthwise3d_cuda_backward_weight_kernelIN3c108BFloat16EfLi1ELi1EEEvN5torch10headeronly6detail27GenericPackedTensorAccessorINS7_14TensorAccessorINS3_8ArrayRefIlEEKT_Lm4ENS6_16DefaultPtrTraitsEiEENS_6detail16IndexBoundsCheckILm5EiEESD_Lm5ESE_iEESJ_NS8_INS9_ISB_SC_Lm4ESE_iEESI_SC_Lm5ESE_iEEiiiiiiiii.kd
    .uniform_work_group_size: 1
    .uses_dynamic_stack: false
    .vgpr_count:     19
    .vgpr_spill_count: 0
    .wavefront_size: 32
    .workgroup_processor_mode: 1
  - .args:
      - .offset:         0
        .size:           48
        .value_kind:     by_value
      - .offset:         48
        .size:           48
        .value_kind:     by_value
      - .offset:         96
        .size:           48
        .value_kind:     by_value
      - .offset:         144
        .size:           4
        .value_kind:     by_value
      - .offset:         148
        .size:           4
        .value_kind:     by_value
      - .offset:         152
        .size:           4
        .value_kind:     by_value
      - .offset:         156
        .size:           4
        .value_kind:     by_value
      - .offset:         160
        .size:           4
        .value_kind:     by_value
      - .offset:         164
        .size:           4
        .value_kind:     by_value
      - .offset:         168
        .size:           4
        .value_kind:     by_value
      - .offset:         172
        .size:           4
        .value_kind:     by_value
      - .offset:         176
        .size:           4
        .value_kind:     by_value
      - .offset:         184
        .size:           4
        .value_kind:     hidden_block_count_x
      - .offset:         188
        .size:           4
        .value_kind:     hidden_block_count_y
      - .offset:         192
        .size:           4
        .value_kind:     hidden_block_count_z
      - .offset:         196
        .size:           2
        .value_kind:     hidden_group_size_x
      - .offset:         198
        .size:           2
        .value_kind:     hidden_group_size_y
      - .offset:         200
        .size:           2
        .value_kind:     hidden_group_size_z
      - .offset:         202
        .size:           2
        .value_kind:     hidden_remainder_x
      - .offset:         204
        .size:           2
        .value_kind:     hidden_remainder_y
      - .offset:         206
        .size:           2
        .value_kind:     hidden_remainder_z
      - .offset:         224
        .size:           8
        .value_kind:     hidden_global_offset_x
      - .offset:         232
        .size:           8
        .value_kind:     hidden_global_offset_y
      - .offset:         240
        .size:           8
        .value_kind:     hidden_global_offset_z
      - .offset:         248
        .size:           2
        .value_kind:     hidden_grid_dims
      - .offset:         304
        .size:           4
        .value_kind:     hidden_dynamic_lds_size
    .group_segment_fixed_size: 0
    .kernarg_segment_align: 8
    .kernarg_segment_size: 440
    .language:       OpenCL C
    .language_version:
      - 2
      - 0
    .max_flat_workgroup_size: 1024
    .name:           _ZN2at6native12_GLOBAL__N_144conv_depthwise3d_cuda_backward_weight_kernelIN3c108BFloat16EfLi2ELi2EEEvN5torch10headeronly6detail27GenericPackedTensorAccessorINS7_14TensorAccessorINS3_8ArrayRefIlEEKT_Lm4ENS6_16DefaultPtrTraitsEiEENS_6detail16IndexBoundsCheckILm5EiEESD_Lm5ESE_iEESJ_NS8_INS9_ISB_SC_Lm4ESE_iEESI_SC_Lm5ESE_iEEiiiiiiiii
    .private_segment_fixed_size: 0
    .sgpr_count:     48
    .sgpr_spill_count: 0
    .symbol:         _ZN2at6native12_GLOBAL__N_144conv_depthwise3d_cuda_backward_weight_kernelIN3c108BFloat16EfLi2ELi2EEEvN5torch10headeronly6detail27GenericPackedTensorAccessorINS7_14TensorAccessorINS3_8ArrayRefIlEEKT_Lm4ENS6_16DefaultPtrTraitsEiEENS_6detail16IndexBoundsCheckILm5EiEESD_Lm5ESE_iEESJ_NS8_INS9_ISB_SC_Lm4ESE_iEESI_SC_Lm5ESE_iEEiiiiiiiii.kd
    .uniform_work_group_size: 1
    .uses_dynamic_stack: false
    .vgpr_count:     19
    .vgpr_spill_count: 0
    .wavefront_size: 32
    .workgroup_processor_mode: 1
  - .args:
      - .offset:         0
        .size:           48
        .value_kind:     by_value
      - .offset:         48
        .size:           48
        .value_kind:     by_value
      - .offset:         96
        .size:           48
        .value_kind:     by_value
      - .offset:         144
        .size:           4
        .value_kind:     by_value
      - .offset:         148
        .size:           4
        .value_kind:     by_value
      - .offset:         152
        .size:           4
        .value_kind:     by_value
      - .offset:         156
        .size:           4
        .value_kind:     by_value
      - .offset:         160
        .size:           4
        .value_kind:     by_value
      - .offset:         164
        .size:           4
        .value_kind:     by_value
      - .offset:         168
        .size:           4
        .value_kind:     by_value
      - .offset:         172
        .size:           4
        .value_kind:     by_value
      - .offset:         176
        .size:           4
        .value_kind:     by_value
      - .offset:         184
        .size:           4
        .value_kind:     hidden_block_count_x
      - .offset:         188
        .size:           4
        .value_kind:     hidden_block_count_y
      - .offset:         192
        .size:           4
        .value_kind:     hidden_block_count_z
      - .offset:         196
        .size:           2
        .value_kind:     hidden_group_size_x
      - .offset:         198
        .size:           2
        .value_kind:     hidden_group_size_y
      - .offset:         200
        .size:           2
        .value_kind:     hidden_group_size_z
      - .offset:         202
        .size:           2
        .value_kind:     hidden_remainder_x
      - .offset:         204
        .size:           2
        .value_kind:     hidden_remainder_y
      - .offset:         206
        .size:           2
        .value_kind:     hidden_remainder_z
      - .offset:         224
        .size:           8
        .value_kind:     hidden_global_offset_x
      - .offset:         232
        .size:           8
        .value_kind:     hidden_global_offset_y
      - .offset:         240
        .size:           8
        .value_kind:     hidden_global_offset_z
      - .offset:         248
        .size:           2
        .value_kind:     hidden_grid_dims
      - .offset:         304
        .size:           4
        .value_kind:     hidden_dynamic_lds_size
    .group_segment_fixed_size: 0
    .kernarg_segment_align: 8
    .kernarg_segment_size: 440
    .language:       OpenCL C
    .language_version:
      - 2
      - 0
    .max_flat_workgroup_size: 1024
    .name:           _ZN2at6native12_GLOBAL__N_144conv_depthwise3d_cuda_backward_weight_kernelIN3c108BFloat16EfLin1ELin1EEEvN5torch10headeronly6detail27GenericPackedTensorAccessorINS7_14TensorAccessorINS3_8ArrayRefIlEEKT_Lm4ENS6_16DefaultPtrTraitsEiEENS_6detail16IndexBoundsCheckILm5EiEESD_Lm5ESE_iEESJ_NS8_INS9_ISB_SC_Lm4ESE_iEESI_SC_Lm5ESE_iEEiiiiiiiii
    .private_segment_fixed_size: 0
    .sgpr_count:     50
    .sgpr_spill_count: 0
    .symbol:         _ZN2at6native12_GLOBAL__N_144conv_depthwise3d_cuda_backward_weight_kernelIN3c108BFloat16EfLin1ELin1EEEvN5torch10headeronly6detail27GenericPackedTensorAccessorINS7_14TensorAccessorINS3_8ArrayRefIlEEKT_Lm4ENS6_16DefaultPtrTraitsEiEENS_6detail16IndexBoundsCheckILm5EiEESD_Lm5ESE_iEESJ_NS8_INS9_ISB_SC_Lm4ESE_iEESI_SC_Lm5ESE_iEEiiiiiiiii.kd
    .uniform_work_group_size: 1
    .uses_dynamic_stack: false
    .vgpr_count:     19
    .vgpr_spill_count: 0
    .wavefront_size: 32
    .workgroup_processor_mode: 1
amdhsa.target:   amdgcn-amd-amdhsa--gfx1201
amdhsa.version:
  - 1
  - 2
...

	.end_amdgpu_metadata
